;; amdgpu-corpus repo=ROCm/rocFFT kind=compiled arch=gfx1030 opt=O3
	.text
	.amdgcn_target "amdgcn-amd-amdhsa--gfx1030"
	.amdhsa_code_object_version 6
	.protected	fft_rtc_back_len935_factors_17_11_5_wgs_255_tpt_85_halfLds_sp_ip_CI_sbrr_dirReg ; -- Begin function fft_rtc_back_len935_factors_17_11_5_wgs_255_tpt_85_halfLds_sp_ip_CI_sbrr_dirReg
	.globl	fft_rtc_back_len935_factors_17_11_5_wgs_255_tpt_85_halfLds_sp_ip_CI_sbrr_dirReg
	.p2align	8
	.type	fft_rtc_back_len935_factors_17_11_5_wgs_255_tpt_85_halfLds_sp_ip_CI_sbrr_dirReg,@function
fft_rtc_back_len935_factors_17_11_5_wgs_255_tpt_85_halfLds_sp_ip_CI_sbrr_dirReg: ; @fft_rtc_back_len935_factors_17_11_5_wgs_255_tpt_85_halfLds_sp_ip_CI_sbrr_dirReg
; %bb.0:
	s_clause 0x1
	s_load_dwordx2 s[14:15], s[4:5], 0x18
	s_load_dwordx4 s[8:11], s[4:5], 0x0
	v_mul_u32_u24_e32 v1, 0x304, v0
	v_mov_b32_e32 v6, 0
	v_mov_b32_e32 v4, 0
	v_mov_b32_e32 v5, 0
	s_load_dwordx2 s[12:13], s[4:5], 0x50
	s_waitcnt lgkmcnt(0)
	s_load_dwordx2 s[2:3], s[14:15], 0x0
	v_lshrrev_b32_e32 v1, 16, v1
	v_cmp_lt_u64_e64 s0, s[10:11], 2
	v_mad_u64_u32 v[2:3], null, s6, 3, v[1:2]
	v_mov_b32_e32 v3, v6
	s_and_b32 vcc_lo, exec_lo, s0
	v_mov_b32_e32 v11, v3
	v_mov_b32_e32 v10, v2
	s_cbranch_vccnz .LBB0_8
; %bb.1:
	s_load_dwordx2 s[0:1], s[4:5], 0x10
	v_mov_b32_e32 v4, 0
	v_mov_b32_e32 v9, v3
	s_add_u32 s6, s14, 8
	v_mov_b32_e32 v5, 0
	v_mov_b32_e32 v8, v2
	s_addc_u32 s7, s15, 0
	s_mov_b64 s[18:19], 1
	s_waitcnt lgkmcnt(0)
	s_add_u32 s16, s0, 8
	s_addc_u32 s17, s1, 0
.LBB0_2:                                ; =>This Inner Loop Header: Depth=1
	s_load_dwordx2 s[20:21], s[16:17], 0x0
                                        ; implicit-def: $vgpr10_vgpr11
	s_mov_b32 s0, exec_lo
	s_waitcnt lgkmcnt(0)
	v_or_b32_e32 v7, s21, v9
	v_cmpx_ne_u64_e32 0, v[6:7]
	s_xor_b32 s1, exec_lo, s0
	s_cbranch_execz .LBB0_4
; %bb.3:                                ;   in Loop: Header=BB0_2 Depth=1
	v_cvt_f32_u32_e32 v1, s20
	v_cvt_f32_u32_e32 v3, s21
	s_sub_u32 s0, 0, s20
	s_subb_u32 s22, 0, s21
	v_fmac_f32_e32 v1, 0x4f800000, v3
	v_rcp_f32_e32 v1, v1
	v_mul_f32_e32 v1, 0x5f7ffffc, v1
	v_mul_f32_e32 v3, 0x2f800000, v1
	v_trunc_f32_e32 v3, v3
	v_fmac_f32_e32 v1, 0xcf800000, v3
	v_cvt_u32_f32_e32 v3, v3
	v_cvt_u32_f32_e32 v1, v1
	v_mul_lo_u32 v7, s0, v3
	v_mul_hi_u32 v10, s0, v1
	v_mul_lo_u32 v11, s22, v1
	v_add_nc_u32_e32 v7, v10, v7
	v_mul_lo_u32 v10, s0, v1
	v_add_nc_u32_e32 v7, v7, v11
	v_mul_hi_u32 v11, v1, v10
	v_mul_lo_u32 v12, v1, v7
	v_mul_hi_u32 v13, v1, v7
	v_mul_hi_u32 v14, v3, v10
	v_mul_lo_u32 v10, v3, v10
	v_mul_hi_u32 v15, v3, v7
	v_mul_lo_u32 v7, v3, v7
	v_add_co_u32 v11, vcc_lo, v11, v12
	v_add_co_ci_u32_e32 v12, vcc_lo, 0, v13, vcc_lo
	v_add_co_u32 v10, vcc_lo, v11, v10
	v_add_co_ci_u32_e32 v10, vcc_lo, v12, v14, vcc_lo
	v_add_co_ci_u32_e32 v11, vcc_lo, 0, v15, vcc_lo
	v_add_co_u32 v7, vcc_lo, v10, v7
	v_add_co_ci_u32_e32 v10, vcc_lo, 0, v11, vcc_lo
	v_add_co_u32 v1, vcc_lo, v1, v7
	v_add_co_ci_u32_e32 v3, vcc_lo, v3, v10, vcc_lo
	v_mul_hi_u32 v7, s0, v1
	v_mul_lo_u32 v11, s22, v1
	v_mul_lo_u32 v10, s0, v3
	v_add_nc_u32_e32 v7, v7, v10
	v_mul_lo_u32 v10, s0, v1
	v_add_nc_u32_e32 v7, v7, v11
	v_mul_hi_u32 v11, v1, v10
	v_mul_lo_u32 v12, v1, v7
	v_mul_hi_u32 v13, v1, v7
	v_mul_hi_u32 v14, v3, v10
	v_mul_lo_u32 v10, v3, v10
	v_mul_hi_u32 v15, v3, v7
	v_mul_lo_u32 v7, v3, v7
	v_add_co_u32 v11, vcc_lo, v11, v12
	v_add_co_ci_u32_e32 v12, vcc_lo, 0, v13, vcc_lo
	v_add_co_u32 v10, vcc_lo, v11, v10
	v_add_co_ci_u32_e32 v10, vcc_lo, v12, v14, vcc_lo
	v_add_co_ci_u32_e32 v11, vcc_lo, 0, v15, vcc_lo
	v_add_co_u32 v7, vcc_lo, v10, v7
	v_add_co_ci_u32_e32 v10, vcc_lo, 0, v11, vcc_lo
	v_add_co_u32 v1, vcc_lo, v1, v7
	v_add_co_ci_u32_e32 v3, vcc_lo, v3, v10, vcc_lo
	v_mul_hi_u32 v7, v8, v1
	v_mad_u64_u32 v[12:13], null, v9, v1, 0
	v_mad_u64_u32 v[10:11], null, v8, v3, 0
	v_mad_u64_u32 v[14:15], null, v9, v3, 0
	v_add_co_u32 v1, vcc_lo, v7, v10
	v_add_co_ci_u32_e32 v3, vcc_lo, 0, v11, vcc_lo
	v_add_co_u32 v1, vcc_lo, v1, v12
	v_add_co_ci_u32_e32 v1, vcc_lo, v3, v13, vcc_lo
	v_add_co_ci_u32_e32 v3, vcc_lo, 0, v15, vcc_lo
	v_add_co_u32 v1, vcc_lo, v1, v14
	v_add_co_ci_u32_e32 v3, vcc_lo, 0, v3, vcc_lo
	v_mul_lo_u32 v7, s21, v1
	v_mad_u64_u32 v[10:11], null, s20, v1, 0
	v_mul_lo_u32 v12, s20, v3
	v_sub_co_u32 v10, vcc_lo, v8, v10
	v_add3_u32 v7, v11, v12, v7
	v_sub_nc_u32_e32 v11, v9, v7
	v_subrev_co_ci_u32_e64 v11, s0, s21, v11, vcc_lo
	v_add_co_u32 v12, s0, v1, 2
	v_add_co_ci_u32_e64 v13, s0, 0, v3, s0
	v_sub_co_u32 v14, s0, v10, s20
	v_sub_co_ci_u32_e32 v7, vcc_lo, v9, v7, vcc_lo
	v_subrev_co_ci_u32_e64 v11, s0, 0, v11, s0
	v_cmp_le_u32_e32 vcc_lo, s20, v14
	v_cmp_eq_u32_e64 s0, s21, v7
	v_cndmask_b32_e64 v14, 0, -1, vcc_lo
	v_cmp_le_u32_e32 vcc_lo, s21, v11
	v_cndmask_b32_e64 v15, 0, -1, vcc_lo
	v_cmp_le_u32_e32 vcc_lo, s20, v10
	;; [unrolled: 2-line block ×3, first 2 shown]
	v_cndmask_b32_e64 v16, 0, -1, vcc_lo
	v_cmp_eq_u32_e32 vcc_lo, s21, v11
	v_cndmask_b32_e64 v7, v16, v10, s0
	v_cndmask_b32_e32 v11, v15, v14, vcc_lo
	v_add_co_u32 v14, vcc_lo, v1, 1
	v_add_co_ci_u32_e32 v15, vcc_lo, 0, v3, vcc_lo
	v_cmp_ne_u32_e32 vcc_lo, 0, v11
	v_cndmask_b32_e32 v10, v15, v13, vcc_lo
	v_cndmask_b32_e32 v12, v14, v12, vcc_lo
	v_cmp_ne_u32_e32 vcc_lo, 0, v7
	v_cndmask_b32_e32 v11, v3, v10, vcc_lo
	v_cndmask_b32_e32 v10, v1, v12, vcc_lo
.LBB0_4:                                ;   in Loop: Header=BB0_2 Depth=1
	s_andn2_saveexec_b32 s0, s1
	s_cbranch_execz .LBB0_6
; %bb.5:                                ;   in Loop: Header=BB0_2 Depth=1
	v_cvt_f32_u32_e32 v1, s20
	s_sub_i32 s1, 0, s20
	v_mov_b32_e32 v11, v6
	v_rcp_iflag_f32_e32 v1, v1
	v_mul_f32_e32 v1, 0x4f7ffffe, v1
	v_cvt_u32_f32_e32 v1, v1
	v_mul_lo_u32 v3, s1, v1
	v_mul_hi_u32 v3, v1, v3
	v_add_nc_u32_e32 v1, v1, v3
	v_mul_hi_u32 v1, v8, v1
	v_mul_lo_u32 v3, v1, s20
	v_add_nc_u32_e32 v7, 1, v1
	v_sub_nc_u32_e32 v3, v8, v3
	v_subrev_nc_u32_e32 v10, s20, v3
	v_cmp_le_u32_e32 vcc_lo, s20, v3
	v_cndmask_b32_e32 v3, v3, v10, vcc_lo
	v_cndmask_b32_e32 v1, v1, v7, vcc_lo
	v_cmp_le_u32_e32 vcc_lo, s20, v3
	v_add_nc_u32_e32 v7, 1, v1
	v_cndmask_b32_e32 v10, v1, v7, vcc_lo
.LBB0_6:                                ;   in Loop: Header=BB0_2 Depth=1
	s_or_b32 exec_lo, exec_lo, s0
	s_load_dwordx2 s[0:1], s[6:7], 0x0
	v_mul_lo_u32 v1, v11, s20
	v_mul_lo_u32 v3, v10, s21
	v_mad_u64_u32 v[12:13], null, v10, s20, 0
	s_add_u32 s18, s18, 1
	s_addc_u32 s19, s19, 0
	s_add_u32 s6, s6, 8
	s_addc_u32 s7, s7, 0
	s_add_u32 s16, s16, 8
	s_addc_u32 s17, s17, 0
	v_add3_u32 v1, v13, v3, v1
	v_sub_co_u32 v3, vcc_lo, v8, v12
	v_sub_co_ci_u32_e32 v1, vcc_lo, v9, v1, vcc_lo
	s_waitcnt lgkmcnt(0)
	v_mul_lo_u32 v7, s1, v3
	v_mul_lo_u32 v1, s0, v1
	v_mad_u64_u32 v[4:5], null, s0, v3, v[4:5]
	v_cmp_ge_u64_e64 s0, s[18:19], s[10:11]
	s_and_b32 vcc_lo, exec_lo, s0
	v_add3_u32 v5, v7, v5, v1
	s_cbranch_vccnz .LBB0_8
; %bb.7:                                ;   in Loop: Header=BB0_2 Depth=1
	v_mov_b32_e32 v8, v10
	v_mov_b32_e32 v9, v11
	s_branch .LBB0_2
.LBB0_8:
	s_lshl_b64 s[0:1], s[10:11], 3
	v_mul_hi_u32 v1, 0x3030304, v0
	s_add_u32 s0, s14, s0
	s_addc_u32 s1, s15, s1
	v_mov_b32_e32 v9, 0
	s_load_dwordx2 s[0:1], s[0:1], 0x0
	s_load_dwordx2 s[4:5], s[4:5], 0x20
                                        ; implicit-def: $vgpr16
                                        ; implicit-def: $vgpr14
                                        ; implicit-def: $vgpr12
                                        ; implicit-def: $vgpr26
                                        ; implicit-def: $vgpr22
                                        ; implicit-def: $vgpr20
                                        ; implicit-def: $vgpr18
                                        ; implicit-def: $vgpr42
                                        ; implicit-def: $vgpr24
                                        ; implicit-def: $vgpr30
                                        ; implicit-def: $vgpr32
                                        ; implicit-def: $vgpr34
                                        ; implicit-def: $vgpr36
                                        ; implicit-def: $vgpr28
                                        ; implicit-def: $vgpr38
                                        ; implicit-def: $vgpr40
	v_mul_u32_u24_e32 v1, 0x55, v1
	v_sub_nc_u32_e32 v53, v0, v1
	s_waitcnt lgkmcnt(0)
	v_mul_lo_u32 v6, s0, v11
	v_mul_lo_u32 v7, s1, v10
	v_mad_u64_u32 v[3:4], null, s0, v10, v[4:5]
	v_cmp_gt_u64_e32 vcc_lo, s[4:5], v[10:11]
	v_cmp_gt_u32_e64 s0, 55, v53
	v_mov_b32_e32 v10, 0
	s_and_b32 s1, vcc_lo, s0
	v_add3_u32 v4, v7, v4, v6
	v_lshlrev_b64 v[0:1], 3, v[3:4]
	s_and_saveexec_b32 s4, s1
	s_cbranch_execz .LBB0_10
; %bb.9:
	v_add_nc_u32_e32 v11, 55, v53
	v_add_nc_u32_e32 v12, 0x6e, v53
	v_mad_u64_u32 v[3:4], null, s2, v53, 0
	v_add_nc_u32_e32 v13, 0xa5, v53
	v_mad_u64_u32 v[5:6], null, s2, v11, 0
	v_mad_u64_u32 v[7:8], null, s2, v12, 0
	v_add_nc_u32_e32 v14, 0xdc, v53
	v_add_nc_u32_e32 v15, 0x113, v53
	v_add_co_u32 v47, s1, s12, v0
	v_mad_u64_u32 v[9:10], null, s3, v53, v[4:5]
	v_mov_b32_e32 v4, v6
	v_mov_b32_e32 v6, v8
	v_mad_u64_u32 v[17:18], null, s2, v14, 0
	v_mad_u64_u32 v[19:20], null, s2, v15, 0
	;; [unrolled: 1-line block ×3, first 2 shown]
	v_mov_b32_e32 v4, v9
	v_mad_u64_u32 v[8:9], null, s3, v12, v[6:7]
	v_mad_u64_u32 v[11:12], null, s2, v13, 0
	v_lshlrev_b64 v[3:4], 3, v[3:4]
	v_mov_b32_e32 v6, v10
	v_add_co_ci_u32_e64 v48, s1, s13, v1, s1
	v_lshlrev_b64 v[7:8], 3, v[7:8]
	v_add_nc_u32_e32 v25, 0x14a, v53
	v_mov_b32_e32 v9, v12
	v_lshlrev_b64 v[5:6], 3, v[5:6]
	v_add_co_u32 v3, s1, v47, v3
	v_add_co_ci_u32_e64 v4, s1, v48, v4, s1
	v_mad_u64_u32 v[9:10], null, s3, v13, v[9:10]
	v_mov_b32_e32 v10, v20
	v_add_co_u32 v5, s1, v47, v5
	v_add_co_ci_u32_e64 v6, s1, v48, v6, s1
	v_add_co_u32 v7, s1, v47, v7
	v_mov_b32_e32 v12, v9
	v_mov_b32_e32 v9, v18
	v_add_co_ci_u32_e64 v8, s1, v48, v8, s1
	v_add_nc_u32_e32 v26, 0x181, v53
	v_lshlrev_b64 v[11:12], 3, v[11:12]
	v_mad_u64_u32 v[13:14], null, s3, v14, v[9:10]
	v_mad_u64_u32 v[21:22], null, s2, v25, 0
	;; [unrolled: 1-line block ×4, first 2 shown]
	v_add_co_u32 v11, s1, v47, v11
	v_add_co_ci_u32_e64 v12, s1, v48, v12, s1
	v_mov_b32_e32 v18, v13
	v_add_nc_u32_e32 v29, 0x1b8, v53
	v_mov_b32_e32 v20, v9
	s_clause 0x3
	global_load_dwordx2 v[9:10], v[3:4], off
	global_load_dwordx2 v[15:16], v[5:6], off
	;; [unrolled: 1-line block ×4, first 2 shown]
	v_mov_b32_e32 v5, v22
	v_lshlrev_b64 v[3:4], 3, v[17:18]
	v_mov_b32_e32 v8, v24
	v_lshlrev_b64 v[6:7], 3, v[19:20]
	v_mad_u64_u32 v[27:28], null, s2, v29, 0
	v_add_nc_u32_e32 v33, 0x226, v53
	v_add_co_u32 v3, s1, v47, v3
	v_mad_u64_u32 v[17:18], null, s3, v25, v[5:6]
	v_add_co_ci_u32_e64 v4, s1, v48, v4, s1
	v_add_co_u32 v5, s1, v47, v6
	v_add_co_ci_u32_e64 v6, s1, v48, v7, s1
	v_mov_b32_e32 v22, v17
	v_mov_b32_e32 v7, v28
	v_mad_u64_u32 v[31:32], null, s2, v33, 0
	v_add_nc_u32_e32 v34, 0x25d, v53
	v_add_nc_u32_e32 v36, 0x302, v53
	;; [unrolled: 1-line block ×3, first 2 shown]
	v_mad_u64_u32 v[43:44], null, s2, v49, 0
	s_waitcnt vmcnt(3)
	v_mad_u64_u32 v[18:19], null, s3, v26, v[8:9]
	v_mad_u64_u32 v[7:8], null, s3, v29, v[7:8]
	v_mov_b32_e32 v24, v18
	v_lshlrev_b64 v[17:18], 3, v[21:22]
	v_add_nc_u32_e32 v21, 0x1ef, v53
	v_mov_b32_e32 v28, v7
	v_lshlrev_b64 v[19:20], 3, v[23:24]
	v_mad_u64_u32 v[23:24], null, s2, v21, 0
	v_add_co_u32 v17, s1, v47, v17
	v_add_co_ci_u32_e64 v18, s1, v48, v18, s1
	v_add_co_u32 v29, s1, v47, v19
	v_mov_b32_e32 v8, v24
	v_add_co_ci_u32_e64 v30, s1, v48, v20, s1
	v_mad_u64_u32 v[7:8], null, s3, v21, v[8:9]
	s_clause 0x3
	global_load_dwordx2 v[25:26], v[3:4], off
	global_load_dwordx2 v[21:22], v[5:6], off
	;; [unrolled: 1-line block ×4, first 2 shown]
	v_lshlrev_b64 v[3:4], 3, v[27:28]
	v_mov_b32_e32 v5, v32
	v_mad_u64_u32 v[27:28], null, s2, v34, 0
	v_mov_b32_e32 v24, v7
	v_mad_u64_u32 v[5:6], null, s3, v33, v[5:6]
	v_add_nc_u32_e32 v33, 0x294, v53
	v_add_co_u32 v3, s1, v47, v3
	v_lshlrev_b64 v[7:8], 3, v[23:24]
	v_mov_b32_e32 v6, v28
	v_add_co_ci_u32_e64 v4, s1, v48, v4, s1
	v_mov_b32_e32 v32, v5
	v_mad_u64_u32 v[23:24], null, s2, v33, 0
	v_mad_u64_u32 v[5:6], null, s3, v34, v[6:7]
	v_add_co_u32 v6, s1, v47, v7
	v_add_co_ci_u32_e64 v7, s1, v48, v8, s1
	v_add_nc_u32_e32 v8, 0x2cb, v53
	v_lshlrev_b64 v[29:30], 3, v[31:32]
	v_mov_b32_e32 v28, v5
	v_mov_b32_e32 v5, v24
	v_mad_u64_u32 v[31:32], null, s2, v8, 0
	v_lshlrev_b64 v[27:28], 3, v[27:28]
	v_mad_u64_u32 v[33:34], null, s3, v33, v[5:6]
	v_mad_u64_u32 v[34:35], null, s2, v36, 0
	v_add_co_u32 v29, s1, v47, v29
	v_mov_b32_e32 v5, v32
	v_add_co_ci_u32_e64 v30, s1, v48, v30, s1
	v_mov_b32_e32 v24, v33
	v_add_co_u32 v27, s1, v47, v27
	v_mad_u64_u32 v[32:33], null, s3, v8, v[5:6]
	v_add_nc_u32_e32 v33, 0x370, v53
	v_mov_b32_e32 v5, v35
	v_add_co_ci_u32_e64 v28, s1, v48, v28, s1
	s_clause 0x3
	global_load_dwordx2 v[41:42], v[3:4], off
	global_load_dwordx2 v[39:40], v[6:7], off
	;; [unrolled: 1-line block ×4, first 2 shown]
	v_mad_u64_u32 v[45:46], null, s2, v33, 0
	v_mad_u64_u32 v[35:36], null, s3, v36, v[5:6]
	v_lshlrev_b64 v[4:5], 3, v[23:24]
	v_mov_b32_e32 v3, v44
	v_mad_u64_u32 v[6:7], null, s3, v49, v[3:4]
	v_mov_b32_e32 v3, v46
	v_add_co_u32 v4, s1, v47, v4
	v_lshlrev_b64 v[7:8], 3, v[31:32]
	v_lshlrev_b64 v[29:30], 3, v[34:35]
	v_add_co_ci_u32_e64 v5, s1, v48, v5, s1
	v_mad_u64_u32 v[23:24], null, s3, v33, v[3:4]
	v_mov_b32_e32 v44, v6
	v_add_co_u32 v6, s1, v47, v7
	v_add_co_ci_u32_e64 v7, s1, v48, v8, s1
	v_lshlrev_b64 v[31:32], 3, v[43:44]
	v_mov_b32_e32 v46, v23
	v_add_co_u32 v23, s1, v47, v29
	v_add_co_ci_u32_e64 v24, s1, v48, v30, s1
	v_lshlrev_b64 v[29:30], 3, v[45:46]
	v_add_co_u32 v43, s1, v47, v31
	v_add_co_ci_u32_e64 v44, s1, v48, v32, s1
	v_add_co_u32 v45, s1, v47, v29
	v_add_co_ci_u32_e64 v46, s1, v48, v30, s1
	s_clause 0x4
	global_load_dwordx2 v[35:36], v[4:5], off
	global_load_dwordx2 v[33:34], v[6:7], off
	;; [unrolled: 1-line block ×5, first 2 shown]
.LBB0_10:
	s_or_b32 exec_lo, exec_lo, s4
	s_waitcnt vmcnt(0)
	v_sub_f32_e32 v6, v16, v24
	v_add_f32_e32 v7, v15, v23
	v_sub_f32_e32 v8, v14, v30
	v_add_f32_e32 v43, v13, v29
	v_sub_f32_e32 v44, v12, v32
	v_mul_f32_e32 v60, 0xbf7ee86f, v6
	v_mul_f32_e32 v66, 0xbf763a35, v6
	;; [unrolled: 1-line block ×4, first 2 shown]
	v_add_f32_e32 v45, v11, v31
	v_fma_f32 v4, 0x3dbcf732, v7, -v60
	v_fma_f32 v5, 0xbe8c1d8e, v7, -v66
	;; [unrolled: 1-line block ×4, first 2 shown]
	v_mul_f32_e32 v58, 0x3f763a35, v44
	v_add_f32_e32 v4, v9, v4
	v_add_f32_e32 v5, v9, v5
	v_mul_f32_e32 v67, 0x3f2c7751, v44
	v_sub_f32_e32 v48, v22, v36
	v_fma_f32 v49, 0xbe8c1d8e, v45, -v58
	v_add_f32_e32 v4, v4, v46
	v_sub_f32_e32 v46, v26, v34
	v_add_f32_e32 v5, v5, v47
	v_fma_f32 v50, 0x3f3d2fb0, v45, -v67
	v_add_f32_e32 v47, v25, v33
	v_mul_hi_u32 v3, 0xaaaaaaab, v2
	v_mul_f32_e32 v61, 0x3eb8f4ab, v46
	v_mul_f32_e32 v68, 0xbf65296c, v46
	v_add_f32_e32 v4, v4, v49
	v_add_f32_e32 v5, v5, v50
	;; [unrolled: 1-line block ×3, first 2 shown]
	v_fma_f32 v51, 0x3f6eb680, v47, -v61
	v_mul_f32_e32 v62, 0xbf65296c, v48
	v_fma_f32 v52, 0x3ee437d1, v47, -v68
	v_sub_f32_e32 v50, v20, v28
	v_lshrrev_b32_e32 v3, 1, v3
	v_mul_f32_e32 v70, 0xbe3c28d5, v48
	v_add_f32_e32 v4, v4, v51
	v_fma_f32 v54, 0x3ee437d1, v49, -v62
	v_add_f32_e32 v51, v19, v27
	v_mul_f32_e32 v63, 0xbf06c442, v50
	v_add_f32_e32 v5, v5, v52
	v_sub_f32_e32 v52, v18, v38
	v_lshl_add_u32 v3, v3, 1, v3
	v_fma_f32 v56, 0xbf7ba420, v49, -v70
	v_add_f32_e32 v4, v4, v54
	v_fma_f32 v54, 0xbf59a7d5, v51, -v63
	v_mul_f32_e32 v71, 0x3f7ee86f, v50
	v_add_f32_e32 v55, v17, v37
	v_mul_f32_e32 v65, 0x3f4c4adb, v52
	v_sub_nc_u32_e32 v2, v2, v3
	v_add_f32_e32 v3, v5, v56
	v_fma_f32 v5, 0x3dbcf732, v51, -v71
	v_add_f32_e32 v4, v4, v54
	v_fma_f32 v54, 0xbf1a4643, v55, -v65
	v_mul_f32_e32 v69, 0xbeb8f4ab, v52
	v_mul_f32_e32 v74, 0xbf65296c, v6
	;; [unrolled: 1-line block ×3, first 2 shown]
	v_add_f32_e32 v3, v3, v5
	v_add_f32_e32 v4, v4, v54
	v_fma_f32 v5, 0x3f6eb680, v55, -v69
	v_fma_f32 v54, 0x3ee437d1, v7, -v74
	v_mul_f32_e32 v75, 0xbf4c4adb, v8
	v_fma_f32 v56, 0xbf1a4643, v7, -v84
	v_mul_f32_e32 v86, 0x3f763a35, v8
	v_add_f32_e32 v3, v3, v5
	v_add_f32_e32 v5, v9, v54
	v_fma_f32 v54, 0xbf1a4643, v43, -v75
	v_add_f32_e32 v57, v9, v56
	v_fma_f32 v72, 0xbe8c1d8e, v43, -v86
	v_mul_f32_e32 v76, 0x3e3c28d5, v44
	v_mul_f32_e32 v87, 0xbeb8f4ab, v44
	v_add_f32_e32 v5, v5, v54
	v_mul_f32_e32 v77, 0x3f763a35, v46
	v_add_f32_e32 v54, v57, v72
	v_fma_f32 v72, 0xbf7ba420, v45, -v76
	v_fma_f32 v73, 0x3f6eb680, v45, -v87
	v_mul_f32_e32 v89, 0xbf06c442, v46
	v_mul_f32_e32 v79, 0x3f2c7751, v48
	;; [unrolled: 1-line block ×3, first 2 shown]
	v_add_f32_e32 v5, v5, v72
	v_add_f32_e32 v54, v54, v73
	v_fma_f32 v73, 0xbe8c1d8e, v47, -v77
	v_fma_f32 v78, 0xbf59a7d5, v47, -v89
	v_fma_f32 v80, 0x3dbcf732, v49, -v82
	v_mul_f32_e32 v83, 0xbf2c7751, v50
	v_sub_f32_e32 v56, v42, v40
	v_add_f32_e32 v5, v5, v73
	v_add_f32_e32 v54, v54, v78
	v_fma_f32 v73, 0x3f3d2fb0, v49, -v79
	v_mul_f32_e32 v78, 0xbeb8f4ab, v50
	v_fma_f32 v88, 0x3f3d2fb0, v51, -v83
	v_mul_f32_e32 v85, 0xbe3c28d5, v52
	v_add_f32_e32 v54, v54, v80
	v_add_f32_e32 v5, v5, v73
	v_fma_f32 v73, 0x3f6eb680, v51, -v78
	v_mul_f32_e32 v80, 0xbf7ee86f, v52
	v_add_f32_e32 v57, v41, v39
	v_mul_f32_e32 v72, 0x3f2c7751, v56
	v_mul_f32_e32 v81, 0xbf4c4adb, v56
	v_add_f32_e32 v5, v5, v73
	v_add_f32_e32 v54, v54, v88
	v_fma_f32 v91, 0x3dbcf732, v55, -v80
	v_fma_f32 v92, 0xbf7ba420, v55, -v85
	v_mul_f32_e32 v73, 0xbf06c442, v56
	v_mul_f32_e32 v88, 0x3f65296c, v56
	v_fma_f32 v90, 0x3f3d2fb0, v57, -v72
	v_fma_f32 v93, 0xbf1a4643, v57, -v81
	v_add_f32_e32 v91, v5, v91
	v_add_f32_e32 v92, v54, v92
	v_fma_f32 v54, 0xbf59a7d5, v57, -v73
	v_fma_f32 v94, 0x3ee437d1, v57, -v88
	v_mul_u32_u24_e32 v2, 0x3a7, v2
	v_add_f32_e32 v5, v4, v90
	v_add_f32_e32 v4, v3, v93
	;; [unrolled: 1-line block ×4, first 2 shown]
	v_lshlrev_b32_e32 v2, 2, v2
	s_and_saveexec_b32 s1, s0
	s_cbranch_execz .LBB0_12
; %bb.11:
	v_mul_f32_e32 v90, 0xbf7ba420, v7
	v_mul_f32_e32 v91, 0x3f6eb680, v43
	;; [unrolled: 1-line block ×5, first 2 shown]
	v_fmamk_f32 v95, v6, 0x3e3c28d5, v90
	v_fmac_f32_e32 v90, 0xbe3c28d5, v6
	v_fmamk_f32 v98, v8, 0xbeb8f4ab, v91
	v_fmac_f32_e32 v91, 0x3eb8f4ab, v8
	v_fmamk_f32 v100, v44, 0x3f06c442, v94
	v_add_f32_e32 v95, v9, v95
	v_add_f32_e32 v90, v9, v90
	v_fmac_f32_e32 v94, 0xbf06c442, v44
	v_mul_f32_e32 v92, 0xbf59a7d5, v7
	v_mul_f32_e32 v99, 0x3ee437d1, v51
	v_add_f32_e32 v95, v95, v98
	v_add_f32_e32 v90, v90, v91
	v_fmamk_f32 v91, v46, 0xbf2c7751, v96
	v_fmac_f32_e32 v96, 0x3f2c7751, v46
	v_mul_f32_e32 v93, 0x3ee437d1, v43
	v_add_f32_e32 v95, v95, v100
	v_add_f32_e32 v90, v90, v94
	v_fmamk_f32 v94, v48, 0x3f4c4adb, v97
	v_mul_f32_e32 v98, 0xbe8c1d8e, v55
	v_fmamk_f32 v100, v6, 0x3f06c442, v92
	v_add_f32_e32 v91, v95, v91
	v_fmac_f32_e32 v97, 0xbf4c4adb, v48
	v_add_f32_e32 v90, v90, v96
	v_fmamk_f32 v96, v50, 0xbf65296c, v99
	v_fmamk_f32 v95, v8, 0xbf65296c, v93
	v_add_f32_e32 v91, v91, v94
	v_fmamk_f32 v94, v52, 0x3f763a35, v98
	v_add_f32_e32 v90, v90, v97
	v_add_f32_e32 v97, v9, v100
	v_fmac_f32_e32 v99, 0x3f65296c, v50
	v_add_f32_e32 v91, v91, v96
	v_mul_f32_e32 v96, 0x3dbcf732, v45
	v_fmac_f32_e32 v92, 0xbf06c442, v6
	v_add_f32_e32 v95, v97, v95
	v_mul_f32_e32 v97, 0xbf1a4643, v47
	v_add_f32_e32 v91, v91, v94
	v_fmamk_f32 v94, v44, 0x3f7ee86f, v96
	v_add_f32_e32 v90, v90, v99
	v_mul_f32_e32 v99, 0x3f6eb680, v49
	v_add_f32_e32 v92, v9, v92
	v_fmac_f32_e32 v93, 0x3f65296c, v8
	v_add_f32_e32 v94, v95, v94
	v_fmamk_f32 v95, v46, 0xbf4c4adb, v97
	v_mul_f32_e32 v101, 0xbf7ba420, v51
	v_fmac_f32_e32 v96, 0xbf7ee86f, v44
	v_add_f32_e32 v92, v92, v93
	v_fmac_f32_e32 v97, 0x3f4c4adb, v46
	v_add_f32_e32 v94, v94, v95
	v_fmamk_f32 v95, v48, 0x3eb8f4ab, v99
	v_fmac_f32_e32 v99, 0xbeb8f4ab, v48
	v_add_f32_e32 v92, v92, v96
	v_mul_f32_e32 v96, 0xbf1a4643, v7
	v_fmac_f32_e32 v98, 0xbf763a35, v52
	v_add_f32_e32 v93, v94, v95
	v_fmamk_f32 v94, v50, 0x3e3c28d5, v101
	v_mul_f32_e32 v95, 0x3f3d2fb0, v55
	v_add_f32_e32 v84, v84, v96
	v_add_f32_e32 v92, v92, v97
	v_fmac_f32_e32 v101, 0xbe3c28d5, v50
	v_add_f32_e32 v93, v93, v94
	v_fmamk_f32 v94, v52, 0xbf2c7751, v95
	v_add_f32_e32 v84, v9, v84
	v_add_f32_e32 v92, v92, v99
	v_mul_f32_e32 v96, 0xbe8c1d8e, v57
	v_fmac_f32_e32 v95, 0x3f2c7751, v52
	v_add_f32_e32 v93, v93, v94
	v_mul_f32_e32 v94, 0xbe8c1d8e, v43
	v_add_f32_e32 v92, v92, v101
	v_add_f32_e32 v90, v90, v98
	v_mul_f32_e32 v98, 0x3dbcf732, v57
	v_fmamk_f32 v97, v56, 0x3f763a35, v96
	v_add_f32_e32 v86, v86, v94
	v_mul_f32_e32 v94, 0x3f6eb680, v45
	v_add_f32_e32 v92, v92, v95
	v_fmac_f32_e32 v96, 0xbf763a35, v56
	v_fmamk_f32 v100, v56, 0xbf7ee86f, v98
	v_add_f32_e32 v84, v84, v86
	v_add_f32_e32 v86, v87, v94
	v_mul_f32_e32 v87, 0xbf59a7d5, v47
	v_mul_f32_e32 v94, 0xbf59a7d5, v43
	v_fmac_f32_e32 v98, 0x3f7ee86f, v56
	v_add_f32_e32 v92, v92, v96
	v_add_f32_e32 v84, v84, v86
	;; [unrolled: 1-line block ×3, first 2 shown]
	v_mul_f32_e32 v87, 0xbe8c1d8e, v7
	v_mul_f32_e32 v89, 0x3dbcf732, v49
	v_add_f32_e32 v64, v64, v94
	v_add_f32_e32 v91, v91, v100
	;; [unrolled: 1-line block ×5, first 2 shown]
	v_mul_f32_e32 v86, 0x3f3d2fb0, v51
	v_mul_f32_e32 v87, 0x3ee437d1, v7
	v_add_f32_e32 v90, v90, v98
	v_add_f32_e32 v66, v9, v66
	;; [unrolled: 1-line block ×3, first 2 shown]
	v_mul_f32_e32 v84, 0x3f3d2fb0, v45
	v_add_f32_e32 v83, v83, v86
	v_mul_f32_e32 v86, 0x3dbcf732, v7
	v_add_f32_e32 v64, v66, v64
	;; [unrolled: 2-line block ×3, first 2 shown]
	v_add_f32_e32 v82, v82, v83
	v_mul_f32_e32 v83, 0x3ee437d1, v47
	v_add_f32_e32 v60, v60, v86
	v_add_f32_e32 v66, v85, v66
	v_mul_f32_e32 v85, 0xbf7ba420, v43
	v_add_f32_e32 v64, v64, v67
	v_mul_f32_e32 v67, 0x3ee437d1, v57
	v_add_f32_e32 v68, v68, v83
	v_add_f32_e32 v66, v82, v66
	v_mul_f32_e32 v82, 0xbe8c1d8e, v45
	v_add_f32_e32 v59, v59, v85
	;; [unrolled: 3-line block ×3, first 2 shown]
	v_mul_f32_e32 v84, 0xbf1a4643, v43
	v_add_f32_e32 v64, v64, v68
	v_mul_f32_e32 v86, 0x3f6eb680, v47
	v_add_f32_e32 v70, v70, v88
	v_add_f32_e32 v59, v60, v59
	;; [unrolled: 1-line block ×4, first 2 shown]
	v_mul_f32_e32 v83, 0xbf7ba420, v45
	v_mul_f32_e32 v88, 0x3dbcf732, v51
	v_add_f32_e32 v64, v64, v70
	v_mul_f32_e32 v70, 0x3ee437d1, v49
	v_add_f32_e32 v75, v75, v84
	v_add_f32_e32 v74, v9, v74
	;; [unrolled: 1-line block ×4, first 2 shown]
	v_mul_f32_e32 v68, 0xbe8c1d8e, v47
	v_add_f32_e32 v71, v71, v88
	v_mul_f32_e32 v60, 0xbf59a7d5, v51
	v_mul_f32_e32 v84, 0x3f6eb680, v55
	v_add_f32_e32 v74, v74, v75
	v_add_f32_e32 v76, v76, v83
	;; [unrolled: 1-line block ×4, first 2 shown]
	v_mul_f32_e32 v85, 0x3f3d2fb0, v49
	v_mul_f32_e32 v75, 0xbf1a4643, v57
	v_add_f32_e32 v64, v64, v71
	v_add_f32_e32 v62, v69, v84
	;; [unrolled: 1-line block ×6, first 2 shown]
	v_mul_f32_e32 v88, 0x3f6eb680, v51
	v_mul_f32_e32 v82, 0xbf1a4643, v55
	v_add_f32_e32 v61, v64, v62
	v_add_f32_e32 v62, v69, v68
	;; [unrolled: 1-line block ×5, first 2 shown]
	v_mul_f32_e32 v60, 0x3f3d2fb0, v7
	v_mul_f32_e32 v87, 0x3dbcf732, v55
	v_add_f32_e32 v66, v66, v67
	v_add_f32_e32 v65, v65, v82
	;; [unrolled: 1-line block ×5, first 2 shown]
	v_fmamk_f32 v64, v6, 0x3f2c7751, v60
	v_mul_f32_e32 v67, 0x3dbcf732, v43
	v_add_f32_e32 v58, v58, v65
	v_add_f32_e32 v62, v62, v63
	;; [unrolled: 1-line block ×4, first 2 shown]
	v_fmamk_f32 v65, v8, 0x3f7ee86f, v67
	v_mul_f32_e32 v68, 0xbf1a4643, v45
	v_mul_f32_e32 v59, 0xbf59a7d5, v57
	v_add_f32_e32 v62, v62, v63
	v_fmac_f32_e32 v60, 0xbf2c7751, v6
	v_add_f32_e32 v63, v64, v65
	v_fmamk_f32 v64, v44, 0x3f4c4adb, v68
	v_mul_f32_e32 v65, 0xbf7ba420, v47
	v_add_f32_e32 v59, v73, v59
	v_add_f32_e32 v60, v9, v60
	v_fmac_f32_e32 v67, 0xbf7ee86f, v8
	v_add_f32_e32 v63, v63, v64
	v_fmamk_f32 v64, v46, 0x3e3c28d5, v65
	v_add_f32_e32 v59, v62, v59
	v_mul_f32_e32 v62, 0xbf59a7d5, v49
	v_add_f32_e32 v60, v60, v67
	v_fmac_f32_e32 v68, 0xbf4c4adb, v44
	v_add_f32_e32 v63, v63, v64
	v_add_f32_e32 v64, v9, v15
	v_fmamk_f32 v67, v48, 0xbf06c442, v62
	v_mul_f32_e32 v70, 0xbe8c1d8e, v51
	v_add_f32_e32 v60, v60, v68
	v_fmac_f32_e32 v65, 0xbe3c28d5, v46
	v_add_f32_e32 v64, v64, v13
	v_add_f32_e32 v63, v63, v67
	v_fmamk_f32 v67, v50, 0xbf763a35, v70
	v_mul_f32_e32 v68, 0x3ee437d1, v55
	v_add_f32_e32 v60, v60, v65
	v_add_f32_e32 v64, v64, v11
	v_fmac_f32_e32 v62, 0x3f06c442, v48
	v_add_f32_e32 v63, v63, v67
	v_fmamk_f32 v65, v52, 0xbf65296c, v68
	v_mul_f32_e32 v7, 0x3f6eb680, v7
	v_add_f32_e32 v64, v64, v25
	v_add_f32_e32 v60, v60, v62
	v_mul_f32_e32 v43, 0x3f3d2fb0, v43
	v_add_f32_e32 v62, v63, v65
	v_fmamk_f32 v65, v6, 0x3eb8f4ab, v7
	v_add_f32_e32 v63, v64, v21
	v_fmac_f32_e32 v7, 0xbeb8f4ab, v6
	v_fmamk_f32 v6, v8, 0x3f2c7751, v43
	v_fmac_f32_e32 v43, 0xbf2c7751, v8
	v_add_f32_e32 v8, v9, v65
	v_add_f32_e32 v63, v63, v19
	v_mul_f32_e32 v45, 0x3ee437d1, v45
	v_add_f32_e32 v7, v9, v7
	v_mul_f32_e32 v47, 0x3dbcf732, v47
	v_add_f32_e32 v6, v8, v6
	v_add_f32_e32 v63, v63, v17
	v_fmamk_f32 v9, v44, 0x3f65296c, v45
	v_add_f32_e32 v7, v7, v43
	v_fmac_f32_e32 v45, 0xbf65296c, v44
	v_fmamk_f32 v43, v46, 0x3f7ee86f, v47
	v_add_f32_e32 v63, v63, v41
	v_mul_f32_e32 v44, 0xbe8c1d8e, v49
	v_fmac_f32_e32 v47, 0xbf7ee86f, v46
	v_add_f32_e32 v7, v7, v45
	v_add_f32_e32 v6, v6, v9
	;; [unrolled: 1-line block ×3, first 2 shown]
	v_fmamk_f32 v9, v48, 0x3f763a35, v44
	v_mul_f32_e32 v45, 0xbf1a4643, v51
	v_add_f32_e32 v7, v7, v47
	v_fmac_f32_e32 v44, 0xbf763a35, v48
	v_add_f32_e32 v8, v37, v8
	v_add_f32_e32 v6, v6, v43
	v_fmamk_f32 v43, v50, 0x3f4c4adb, v45
	v_mul_f32_e32 v46, 0xbf59a7d5, v55
	v_add_f32_e32 v7, v7, v44
	v_add_f32_e32 v8, v27, v8
	v_fmac_f32_e32 v45, 0xbf4c4adb, v50
	v_fmac_f32_e32 v70, 0x3f763a35, v50
	v_add_f32_e32 v6, v6, v9
	v_fmamk_f32 v9, v52, 0x3f06c442, v46
	v_add_f32_e32 v8, v35, v8
	v_mul_f32_e32 v44, 0xbf7ba420, v57
	v_add_f32_e32 v7, v7, v45
	v_fmac_f32_e32 v46, 0xbf06c442, v52
	v_mul_f32_e32 v67, 0x3f6eb680, v57
	v_add_f32_e32 v8, v33, v8
	v_add_f32_e32 v60, v60, v70
	v_fmac_f32_e32 v68, 0x3f65296c, v52
	v_mul_f32_e32 v86, 0x3f3d2fb0, v57
	v_add_f32_e32 v6, v6, v43
	v_add_f32_e32 v8, v31, v8
	v_fmamk_f32 v43, v56, 0x3e3c28d5, v44
	v_add_f32_e32 v7, v7, v46
	v_fmac_f32_e32 v44, 0xbe3c28d5, v56
	v_mul_u32_u24_e32 v46, 0x44, v53
	v_add_f32_e32 v8, v29, v8
	v_fmamk_f32 v64, v56, 0xbeb8f4ab, v67
	v_add_f32_e32 v45, v60, v68
	v_fmac_f32_e32 v67, 0x3eb8f4ab, v56
	v_add_f32_e32 v69, v72, v86
	v_add_f32_e32 v6, v6, v9
	;; [unrolled: 1-line block ×4, first 2 shown]
	v_add3_u32 v9, 0, v46, v2
	v_add_f32_e32 v44, v45, v67
	v_add_f32_e32 v45, v58, v69
	;; [unrolled: 1-line block ×5, first 2 shown]
	ds_write2_b32 v9, v8, v7 offset1:1
	ds_write2_b32 v9, v44, v59 offset0:2 offset1:3
	ds_write2_b32 v9, v45, v61 offset0:4 offset1:5
	;; [unrolled: 1-line block ×7, first 2 shown]
	ds_write_b32 v9, v6 offset:64
.LBB0_12:
	s_or_b32 exec_lo, exec_lo, s1
	v_sub_f32_e32 v95, v15, v23
	v_add_f32_e32 v89, v16, v24
	v_sub_f32_e32 v83, v13, v29
	v_add_f32_e32 v78, v14, v30
	v_sub_f32_e32 v76, v11, v31
	v_mul_f32_e32 v93, 0xbf65296c, v95
	v_mul_f32_e32 v91, 0xbf4c4adb, v95
	;; [unrolled: 1-line block ×5, first 2 shown]
	v_fmamk_f32 v6, v89, 0x3ee437d1, v93
	v_fmamk_f32 v9, v89, 0xbf1a4643, v91
	v_mul_f32_e32 v92, 0xbf763a35, v95
	v_fmamk_f32 v7, v89, 0x3dbcf732, v94
	v_mul_f32_e32 v90, 0xbe3c28d5, v83
	v_add_f32_e32 v6, v10, v6
	v_fmamk_f32 v13, v78, 0xbf1a4643, v86
	v_add_f32_e32 v9, v10, v9
	v_fmamk_f32 v11, v78, 0xbe8c1d8e, v88
	v_add_f32_e32 v74, v12, v32
	v_mul_f32_e32 v84, 0x3e3c28d5, v76
	v_sub_f32_e32 v70, v25, v33
	v_fmamk_f32 v8, v89, 0xbe8c1d8e, v92
	v_add_f32_e32 v7, v10, v7
	v_mul_f32_e32 v87, 0x3f06c442, v83
	v_fmamk_f32 v15, v78, 0xbf7ba420, v90
	v_add_f32_e32 v6, v6, v13
	v_add_f32_e32 v9, v9, v11
	v_mul_f32_e32 v85, 0x3f763a35, v76
	v_fmamk_f32 v11, v74, 0xbf7ba420, v84
	v_add_f32_e32 v68, v26, v34
	v_mul_f32_e32 v75, 0x3f763a35, v70
	v_sub_f32_e32 v60, v21, v35
	v_add_f32_e32 v8, v10, v8
	v_fmamk_f32 v23, v78, 0xbf59a7d5, v87
	v_add_f32_e32 v7, v7, v15
	v_mul_f32_e32 v81, 0x3f2c7751, v76
	v_fmamk_f32 v13, v74, 0xbe8c1d8e, v85
	v_add_f32_e32 v6, v6, v11
	v_fmamk_f32 v11, v68, 0xbe8c1d8e, v75
	v_mul_f32_e32 v80, 0x3eb8f4ab, v70
	v_add_f32_e32 v59, v22, v36
	v_mul_f32_e32 v69, 0x3f2c7751, v60
	v_add_f32_e32 v8, v8, v23
	v_fmamk_f32 v15, v74, 0x3f3d2fb0, v81
	v_add_f32_e32 v7, v7, v13
	v_mul_f32_e32 v79, 0xbf65296c, v70
	v_fmamk_f32 v13, v68, 0x3f6eb680, v80
	v_add_f32_e32 v6, v6, v11
	v_fmamk_f32 v11, v59, 0x3f3d2fb0, v69
	v_mul_f32_e32 v71, 0xbf65296c, v60
	v_sub_f32_e32 v55, v19, v27
	v_add_f32_e32 v8, v8, v15
	v_fmamk_f32 v15, v68, 0x3ee437d1, v79
	v_add_f32_e32 v7, v7, v13
	v_add_f32_e32 v6, v6, v11
	v_mul_f32_e32 v73, 0xbe3c28d5, v60
	v_fmamk_f32 v11, v59, 0x3ee437d1, v71
	v_add_f32_e32 v35, v20, v28
	v_mul_f32_e32 v61, 0xbeb8f4ab, v55
	v_mul_f32_e32 v82, 0xbeb8f4ab, v76
	v_add_f32_e32 v8, v8, v15
	v_fmamk_f32 v13, v59, 0xbf7ba420, v73
	v_add_f32_e32 v7, v7, v11
	v_fmamk_f32 v11, v35, 0x3f6eb680, v61
	v_mul_f32_e32 v63, 0x3f7ee86f, v55
	v_fmamk_f32 v23, v74, 0x3f6eb680, v82
	v_mul_f32_e32 v77, 0xbf06c442, v70
	v_add_f32_e32 v8, v8, v13
	v_add_f32_e32 v6, v6, v11
	v_fmamk_f32 v11, v35, 0x3dbcf732, v63
	v_add_f32_e32 v9, v9, v23
	v_fmamk_f32 v21, v68, 0xbf59a7d5, v77
	v_mul_f32_e32 v72, 0x3f7ee86f, v60
	v_mul_f32_e32 v65, 0xbf06c442, v55
	v_sub_f32_e32 v27, v17, v37
	v_add_f32_e32 v8, v8, v11
	v_lshlrev_b32_e32 v11, 2, v53
	v_add_f32_e32 v9, v9, v21
	v_fmamk_f32 v15, v59, 0x3dbcf732, v72
	v_fmamk_f32 v13, v35, 0xbf59a7d5, v65
	v_mul_f32_e32 v67, 0xbf2c7751, v55
	v_add_f32_e32 v23, v18, v38
	v_mul_f32_e32 v37, 0xbeb8f4ab, v27
	v_add_nc_u32_e32 v25, 0, v11
	v_mul_f32_e32 v56, 0xbf7ee86f, v27
	v_add_f32_e32 v9, v9, v15
	v_add_f32_e32 v7, v7, v13
	v_fmamk_f32 v13, v35, 0x3f3d2fb0, v67
	v_mul_f32_e32 v58, 0x3f4c4adb, v27
	v_fmamk_f32 v17, v23, 0x3f6eb680, v37
	v_add_nc_u32_e32 v21, v25, v2
	v_fmamk_f32 v15, v23, 0x3dbcf732, v56
	v_add_f32_e32 v9, v9, v13
	v_fmamk_f32 v13, v23, 0xbf1a4643, v58
	v_add3_u32 v33, 0, v2, v11
	v_add_f32_e32 v8, v8, v17
	v_add_nc_u32_e32 v17, 0x200, v21
	v_add_f32_e32 v31, v6, v15
	v_add_nc_u32_e32 v6, 0x400, v21
	v_add_nc_u32_e32 v19, 0x800, v21
	v_add_nc_u32_e32 v15, 0xa00, v21
	v_add_f32_e32 v7, v7, v13
	s_waitcnt lgkmcnt(0)
	s_barrier
	buffer_gl0_inv
	ds_read_b32 v13, v33
	ds_read2_b32 v[51:52], v21 offset0:85 offset1:170
	ds_read2_b32 v[49:50], v17 offset0:127 offset1:212
	;; [unrolled: 1-line block ×5, first 2 shown]
	v_mul_f32_e32 v57, 0xbe3c28d5, v27
	v_sub_f32_e32 v29, v41, v39
	v_add_f32_e32 v39, v42, v40
	s_waitcnt lgkmcnt(0)
	s_barrier
	v_fmamk_f32 v96, v23, 0xbf7ba420, v57
	v_mul_f32_e32 v66, 0xbf06c442, v29
	v_mul_f32_e32 v64, 0x3f2c7751, v29
	v_mul_f32_e32 v62, 0xbf4c4adb, v29
	v_mul_f32_e32 v41, 0x3f65296c, v29
	v_add_f32_e32 v96, v9, v96
	v_fmamk_f32 v9, v39, 0xbf59a7d5, v66
	v_fmamk_f32 v97, v39, 0x3f3d2fb0, v64
	;; [unrolled: 1-line block ×4, first 2 shown]
	buffer_gl0_inv
	v_add_f32_e32 v31, v31, v9
	v_add_f32_e32 v9, v7, v97
	;; [unrolled: 1-line block ×4, first 2 shown]
	s_and_saveexec_b32 s1, s0
	s_cbranch_execz .LBB0_14
; %bb.13:
	v_add_f32_e32 v16, v10, v16
	v_mul_f32_e32 v98, 0xbe8c1d8e, v89
	v_mul_f32_e32 v99, 0xbf1a4643, v89
	;; [unrolled: 1-line block ×4, first 2 shown]
	v_add_f32_e32 v14, v16, v14
	v_mul_f32_e32 v16, 0xbf1a4643, v78
	v_mul_f32_e32 v121, 0xbf2c7751, v95
	;; [unrolled: 1-line block ×3, first 2 shown]
	v_sub_f32_e32 v91, v99, v91
	v_add_f32_e32 v12, v14, v12
	v_mul_f32_e32 v97, 0x3dbcf732, v89
	v_mul_f32_e32 v101, 0xbf59a7d5, v78
	v_sub_f32_e32 v93, v96, v93
	v_fma_f32 v96, 0xbf59a7d5, v89, -v122
	v_add_f32_e32 v12, v12, v26
	v_fmac_f32_e32 v122, 0xbf59a7d5, v89
	v_sub_f32_e32 v16, v16, v86
	v_mul_f32_e32 v86, 0x3f65296c, v83
	v_sub_f32_e32 v88, v102, v88
	v_add_f32_e32 v12, v12, v22
	v_mul_f32_e32 v100, 0xbf7ba420, v78
	v_mul_f32_e32 v123, 0xbf7ee86f, v83
	v_sub_f32_e32 v94, v97, v94
	v_sub_f32_e32 v87, v101, v87
	v_add_f32_e32 v12, v12, v20
	v_mul_f32_e32 v14, 0xbf7ba420, v74
	v_mul_f32_e32 v103, 0xbe8c1d8e, v74
	;; [unrolled: 1-line block ×4, first 2 shown]
	v_add_f32_e32 v12, v12, v18
	v_sub_f32_e32 v14, v14, v84
	v_mul_f32_e32 v26, 0xbe8c1d8e, v68
	v_mul_f32_e32 v106, 0x3f6eb680, v68
	v_sub_f32_e32 v81, v104, v81
	v_add_f32_e32 v12, v12, v42
	v_mul_f32_e32 v108, 0xbf59a7d5, v68
	v_sub_f32_e32 v26, v26, v75
	v_mul_f32_e32 v75, 0x3f4c4adb, v70
	v_mul_f32_e32 v107, 0x3ee437d1, v68
	v_add_f32_e32 v12, v12, v40
	v_mul_f32_e32 v40, 0xbeb8f4ab, v95
	v_mul_f32_e32 v95, 0xbe3c28d5, v95
	;; [unrolled: 1-line block ×4, first 2 shown]
	v_add_f32_e32 v12, v38, v12
	v_mul_f32_e32 v38, 0xbf2c7751, v83
	v_mul_f32_e32 v83, 0x3eb8f4ab, v83
	;; [unrolled: 1-line block ×4, first 2 shown]
	v_add_f32_e32 v12, v28, v12
	v_sub_f32_e32 v28, v98, v92
	v_fma_f32 v92, 0x3f6eb680, v89, -v40
	v_fmac_f32_e32 v40, 0x3f6eb680, v89
	v_sub_f32_e32 v22, v22, v69
	v_add_f32_e32 v12, v36, v12
	v_fma_f32 v36, 0x3f3d2fb0, v89, -v121
	v_fmac_f32_e32 v121, 0x3f3d2fb0, v89
	v_add_f32_e32 v40, v10, v40
	v_add_f32_e32 v28, v10, v28
	;; [unrolled: 1-line block ×3, first 2 shown]
	v_fma_f32 v34, 0xbf7ba420, v89, -v95
	v_fmac_f32_e32 v95, 0xbf7ba420, v89
	v_add_f32_e32 v89, v10, v92
	v_add_f32_e32 v92, v10, v93
	;; [unrolled: 1-line block ×11, first 2 shown]
	v_fma_f32 v96, 0x3dbcf732, v78, -v123
	v_add_f32_e32 v12, v24, v12
	v_fma_f32 v24, 0x3f3d2fb0, v78, -v38
	v_fmac_f32_e32 v38, 0x3f3d2fb0, v78
	v_add_f32_e32 v30, v30, v88
	v_mul_f32_e32 v88, 0xbf65296c, v76
	v_add_f32_e32 v10, v10, v95
	v_add_f32_e32 v24, v89, v24
	v_fma_f32 v89, 0x3ee437d1, v78, -v86
	v_fmac_f32_e32 v123, 0x3dbcf732, v78
	v_add_f32_e32 v38, v40, v38
	v_sub_f32_e32 v40, v100, v90
	v_add_f32_e32 v28, v28, v87
	v_fmac_f32_e32 v86, 0x3ee437d1, v78
	v_add_f32_e32 v87, v91, v89
	v_fma_f32 v89, 0x3f6eb680, v78, -v83
	v_fmac_f32_e32 v83, 0x3f6eb680, v78
	v_fma_f32 v78, 0x3ee437d1, v74, -v88
	v_add_f32_e32 v16, v92, v16
	v_add_f32_e32 v40, v93, v40
	v_mul_f32_e32 v90, 0xbf4c4adb, v76
	v_add_f32_e32 v10, v10, v83
	v_add_f32_e32 v24, v24, v78
	v_sub_f32_e32 v78, v103, v85
	v_mul_f32_e32 v83, 0xbf7ee86f, v76
	v_add_f32_e32 v14, v16, v14
	v_mul_f32_e32 v76, 0xbf06c442, v76
	v_add_f32_e32 v34, v34, v89
	v_add_f32_e32 v16, v40, v78
	v_sub_f32_e32 v40, v105, v82
	v_fma_f32 v78, 0x3dbcf732, v74, -v83
	v_fmac_f32_e32 v88, 0x3ee437d1, v74
	v_fma_f32 v89, 0xbf1a4643, v74, -v90
	v_fmac_f32_e32 v90, 0xbf1a4643, v74
	v_add_f32_e32 v30, v30, v40
	v_add_f32_e32 v40, v87, v78
	v_mul_f32_e32 v78, 0xbf7ee86f, v70
	v_add_f32_e32 v28, v28, v81
	v_fmac_f32_e32 v83, 0x3dbcf732, v74
	v_fma_f32 v81, 0xbf59a7d5, v74, -v76
	v_fmac_f32_e32 v76, 0xbf59a7d5, v74
	v_fma_f32 v74, 0x3dbcf732, v68, -v78
	v_add_f32_e32 v86, v94, v86
	v_add_f32_e32 v14, v14, v26
	v_sub_f32_e32 v26, v108, v77
	v_add_f32_e32 v38, v38, v88
	v_add_f32_e32 v24, v24, v74
	v_sub_f32_e32 v74, v106, v80
	v_add_f32_e32 v82, v86, v83
	v_mul_f32_e32 v83, 0xbe3c28d5, v70
	v_fmac_f32_e32 v78, 0x3dbcf732, v68
	v_mul_f32_e32 v70, 0x3f2c7751, v70
	v_add_f32_e32 v16, v16, v74
	v_fma_f32 v74, 0xbf1a4643, v68, -v75
	v_add_f32_e32 v26, v30, v26
	v_add_f32_e32 v34, v34, v81
	v_fma_f32 v81, 0xbf7ba420, v68, -v83
	v_fmac_f32_e32 v83, 0xbf7ba420, v68
	v_add_f32_e32 v30, v40, v74
	v_mul_f32_e32 v40, 0xbf763a35, v60
	v_add_f32_e32 v38, v38, v78
	v_fmac_f32_e32 v75, 0xbf1a4643, v68
	v_fma_f32 v74, 0x3f3d2fb0, v68, -v70
	v_fmac_f32_e32 v70, 0x3f3d2fb0, v68
	v_fma_f32 v68, 0xbe8c1d8e, v59, -v40
	v_fmac_f32_e32 v40, 0xbe8c1d8e, v59
	v_add_f32_e32 v32, v32, v96
	v_add_f32_e32 v10, v10, v76
	v_sub_f32_e32 v76, v107, v79
	v_add_f32_e32 v24, v24, v68
	v_add_f32_e32 v38, v38, v40
	v_sub_f32_e32 v40, v109, v71
	v_mul_f32_e32 v68, 0xbeb8f4ab, v60
	v_add_f32_e32 v32, v32, v89
	v_add_f32_e32 v28, v28, v76
	v_mul_f32_e32 v76, 0x3f06c442, v60
	v_sub_f32_e32 v69, v110, v73
	v_add_f32_e32 v14, v14, v22
	v_add_f32_e32 v16, v16, v40
	v_sub_f32_e32 v22, v111, v72
	v_fma_f32 v40, 0x3f6eb680, v59, -v68
	v_mul_f32_e32 v60, 0xbf4c4adb, v60
	v_add_f32_e32 v32, v32, v81
	v_add_f32_e32 v34, v34, v74
	v_fma_f32 v74, 0xbf59a7d5, v59, -v76
	v_add_f32_e32 v28, v28, v69
	v_add_f32_e32 v22, v26, v22
	;; [unrolled: 1-line block ×3, first 2 shown]
	v_mul_f32_e32 v30, 0xbf4c4adb, v55
	v_fma_f32 v40, 0xbf1a4643, v59, -v60
	v_mul_f32_e32 v69, 0x3f763a35, v55
	v_mul_f32_e32 v20, 0x3f6eb680, v35
	;; [unrolled: 1-line block ×3, first 2 shown]
	v_add_f32_e32 v36, v36, v123
	v_fmac_f32_e32 v76, 0xbf59a7d5, v59
	v_add_f32_e32 v32, v32, v74
	v_fmac_f32_e32 v68, 0x3f6eb680, v59
	v_fmac_f32_e32 v60, 0xbf1a4643, v59
	v_fma_f32 v59, 0xbf1a4643, v35, -v30
	v_add_f32_e32 v34, v34, v40
	v_fmac_f32_e32 v30, 0xbf1a4643, v35
	v_fma_f32 v40, 0xbe8c1d8e, v35, -v69
	v_mul_f32_e32 v113, 0x3dbcf732, v35
	v_mul_f32_e32 v114, 0x3f3d2fb0, v35
	v_add_f32_e32 v36, v36, v90
	v_add_f32_e32 v30, v38, v30
	;; [unrolled: 1-line block ×3, first 2 shown]
	v_sub_f32_e32 v20, v20, v61
	v_sub_f32_e32 v38, v112, v65
	v_mul_f32_e32 v40, 0xbe3c28d5, v55
	v_add_f32_e32 v36, v36, v83
	v_add_f32_e32 v24, v24, v59
	v_sub_f32_e32 v59, v113, v63
	v_add_f32_e32 v14, v14, v20
	v_add_f32_e32 v16, v16, v38
	v_sub_f32_e32 v20, v114, v67
	v_fma_f32 v38, 0xbf7ba420, v35, -v40
	v_mul_f32_e32 v55, 0x3f65296c, v55
	v_add_f32_e32 v36, v36, v76
	v_fmac_f32_e32 v69, 0xbe8c1d8e, v35
	v_add_f32_e32 v28, v28, v59
	v_add_f32_e32 v20, v22, v20
	;; [unrolled: 1-line block ×3, first 2 shown]
	v_mul_f32_e32 v26, 0xbf06c442, v27
	v_fma_f32 v38, 0x3ee437d1, v35, -v55
	v_mul_f32_e32 v59, 0x3f65296c, v27
	v_mul_f32_e32 v18, 0x3dbcf732, v23
	v_mul_f32_e32 v115, 0xbf1a4643, v23
	v_add_f32_e32 v36, v36, v69
	v_fmac_f32_e32 v40, 0xbf7ba420, v35
	v_fmac_f32_e32 v55, 0x3ee437d1, v35
	v_fma_f32 v35, 0xbf59a7d5, v23, -v26
	v_add_f32_e32 v34, v34, v38
	v_fmac_f32_e32 v26, 0xbf59a7d5, v23
	v_fma_f32 v38, 0x3ee437d1, v23, -v59
	v_fmac_f32_e32 v59, 0x3ee437d1, v23
	v_mul_f32_e32 v117, 0xbf7ba420, v23
	v_add_f32_e32 v24, v24, v35
	v_add_f32_e32 v26, v30, v26
	;; [unrolled: 1-line block ×3, first 2 shown]
	v_sub_f32_e32 v18, v18, v56
	v_sub_f32_e32 v32, v115, v58
	v_add_f32_e32 v35, v36, v59
	v_mul_f32_e32 v36, 0x3f2c7751, v27
	v_add_f32_e32 v10, v10, v70
	v_mul_f32_e32 v116, 0x3f6eb680, v23
	v_add_f32_e32 v14, v14, v18
	v_add_f32_e32 v16, v16, v32
	v_sub_f32_e32 v18, v117, v57
	v_fma_f32 v32, 0x3f3d2fb0, v23, -v36
	v_add_f32_e32 v10, v10, v60
	v_mul_f32_e32 v27, 0xbf763a35, v27
	v_sub_f32_e32 v37, v116, v37
	v_add_f32_e32 v18, v20, v18
	v_add_f32_e32 v20, v22, v32
	v_mul_f32_e32 v22, 0xbe3c28d5, v29
	v_add_f32_e32 v10, v10, v55
	v_fmac_f32_e32 v36, 0x3f3d2fb0, v23
	v_fma_f32 v32, 0xbe8c1d8e, v23, -v27
	v_fmac_f32_e32 v27, 0xbe8c1d8e, v23
	v_mul_f32_e32 v23, 0x3eb8f4ab, v29
	v_mul_f32_e32 v42, 0xbf59a7d5, v39
	v_add_f32_e32 v28, v28, v37
	v_fma_f32 v37, 0xbf7ba420, v39, -v22
	v_fmac_f32_e32 v22, 0xbf7ba420, v39
	v_mul_f32_e32 v118, 0x3f3d2fb0, v39
	v_add_f32_e32 v10, v10, v27
	v_fma_f32 v27, 0x3f6eb680, v39, -v23
	v_add_f32_e32 v75, v82, v75
	v_mul_f32_e32 v120, 0x3ee437d1, v39
	v_add_f32_e32 v22, v26, v22
	v_sub_f32_e32 v26, v42, v66
	v_mul_f32_e32 v119, 0xbf1a4643, v39
	v_add_f32_e32 v27, v30, v27
	v_sub_f32_e32 v30, v118, v64
	v_add_f32_e32 v68, v75, v68
	v_add_f32_e32 v14, v14, v26
	v_sub_f32_e32 v26, v120, v41
	v_add_f32_e32 v32, v34, v32
	v_sub_f32_e32 v34, v119, v62
	v_add_f32_e32 v16, v16, v30
	v_mul_f32_e32 v30, 0xbf763a35, v29
	v_add_f32_e32 v40, v68, v40
	v_fmac_f32_e32 v23, 0x3f6eb680, v39
	v_mul_f32_e32 v29, 0x3f7ee86f, v29
	v_add_f32_e32 v18, v18, v26
	v_lshlrev_b32_e32 v26, 6, v53
	v_add_f32_e32 v28, v28, v34
	v_fma_f32 v34, 0xbe8c1d8e, v39, -v30
	v_add_f32_e32 v36, v40, v36
	v_add_f32_e32 v23, v35, v23
	v_fmac_f32_e32 v30, 0xbe8c1d8e, v39
	v_fma_f32 v35, 0x3dbcf732, v39, -v29
	v_fmac_f32_e32 v29, 0x3dbcf732, v39
	v_add_f32_e32 v24, v24, v37
	v_add3_u32 v25, v25, v26, v2
	v_add_f32_e32 v20, v20, v34
	v_add_f32_e32 v26, v36, v30
	v_add_f32_e32 v30, v32, v35
	v_add_f32_e32 v10, v10, v29
	ds_write2_b32 v25, v12, v24 offset1:1
	ds_write2_b32 v25, v27, v14 offset0:2 offset1:3
	ds_write2_b32 v25, v16, v28 offset0:4 offset1:5
	;; [unrolled: 1-line block ×7, first 2 shown]
	ds_write_b32 v25, v22 offset:64
.LBB0_14:
	s_or_b32 exec_lo, exec_lo, s1
	v_and_b32_e32 v10, 0xff, v53
	v_mov_b32_e32 v14, 10
	s_waitcnt lgkmcnt(0)
	s_barrier
	buffer_gl0_inv
	v_mul_lo_u16 v10, 0xf1, v10
	v_cmp_gt_u32_e64 s0, 17, v53
	v_lshrrev_b16 v10, 12, v10
	v_mul_lo_u16 v12, v10, 17
	v_and_b32_e32 v10, 0xffff, v10
	v_sub_nc_u16 v12, v53, v12
	v_mad_u32_u24 v10, 0x2ec, v10, 0
	v_mul_u32_u24_sdwa v14, v12, v14 dst_sel:DWORD dst_unused:UNUSED_PAD src0_sel:BYTE_0 src1_sel:DWORD
	v_lshlrev_b32_e32 v14, 3, v14
	s_clause 0x4
	global_load_dwordx4 v[37:40], v14, s[8:9]
	global_load_dwordx4 v[58:61], v14, s[8:9] offset:16
	global_load_dwordx4 v[62:65], v14, s[8:9] offset:32
	global_load_dwordx4 v[66:69], v14, s[8:9] offset:48
	global_load_dwordx4 v[70:73], v14, s[8:9] offset:64
	ds_read2_b32 v[25:26], v21 offset0:85 offset1:170
	ds_read2_b32 v[16:17], v17 offset0:127 offset1:212
	v_mov_b32_e32 v14, 2
	ds_read2_b32 v[74:75], v6 offset0:169 offset1:254
	v_lshlrev_b32_sdwa v18, v14, v12 dst_sel:DWORD dst_unused:UNUSED_PAD src0_sel:DWORD src1_sel:BYTE_0
	ds_read2_b32 v[76:77], v19 offset0:83 offset1:168
	ds_read_b32 v35, v33
	ds_read2_b32 v[14:15], v15 offset0:125 offset1:210
	v_add_nc_u32_e32 v12, 0x600, v21
	s_waitcnt vmcnt(0) lgkmcnt(0)
	s_barrier
	v_add3_u32 v22, v10, v18, v2
	buffer_gl0_inv
	v_mul_f32_e32 v55, v25, v38
	v_mul_f32_e32 v2, v51, v38
	;; [unrolled: 1-line block ×7, first 2 shown]
	v_fmac_f32_e32 v55, v51, v37
	v_mul_f32_e32 v34, v16, v59
	v_mul_f32_e32 v18, v49, v59
	v_mul_f32_e32 v30, v47, v63
	v_mul_f32_e32 v32, v48, v65
	v_mul_f32_e32 v38, v45, v67
	v_mul_f32_e32 v40, v46, v69
	v_mul_f32_e32 v59, v43, v71
	v_mul_f32_e32 v56, v15, v73
	v_fma_f32 v57, v25, v37, -v2
	v_fmac_f32_e32 v41, v52, v39
	v_fma_f32 v51, v26, v39, -v10
	v_fma_f32 v39, v15, v72, -v61
	v_add_f32_e32 v2, v13, v55
	v_mul_f32_e32 v23, v74, v63
	v_mul_f32_e32 v24, v75, v65
	;; [unrolled: 1-line block ×5, first 2 shown]
	v_fmac_f32_e32 v34, v49, v58
	v_fma_f32 v37, v16, v58, -v18
	v_fma_f32 v29, v17, v60, -v20
	;; [unrolled: 1-line block ×6, first 2 shown]
	v_fmac_f32_e32 v56, v44, v72
	v_fma_f32 v40, v14, v70, -v59
	v_sub_f32_e32 v14, v57, v39
	v_add_f32_e32 v2, v2, v41
	v_fmac_f32_e32 v27, v50, v60
	v_fmac_f32_e32 v23, v47, v62
	;; [unrolled: 1-line block ×6, first 2 shown]
	v_add_f32_e32 v10, v55, v56
	v_sub_f32_e32 v16, v51, v40
	v_sub_f32_e32 v18, v37, v38
	;; [unrolled: 1-line block ×4, first 2 shown]
	v_mul_f32_e32 v45, 0xbf0a6770, v14
	v_mul_f32_e32 v46, 0xbf68dda4, v14
	;; [unrolled: 1-line block ×5, first 2 shown]
	v_add_f32_e32 v2, v2, v34
	v_add_f32_e32 v15, v41, v42
	;; [unrolled: 1-line block ×5, first 2 shown]
	v_mul_f32_e32 v49, 0xbf68dda4, v16
	v_mul_f32_e32 v50, 0xbf4178ce, v16
	;; [unrolled: 1-line block ×20, first 2 shown]
	v_fmamk_f32 v71, v10, 0x3f575c64, v45
	v_fma_f32 v45, 0x3f575c64, v10, -v45
	v_fmamk_f32 v72, v10, 0x3ed4b147, v46
	v_fma_f32 v46, 0x3ed4b147, v10, -v46
	;; [unrolled: 2-line block ×5, first 2 shown]
	v_add_f32_e32 v2, v2, v27
	v_fmamk_f32 v14, v15, 0x3ed4b147, v49
	v_fma_f32 v49, 0x3ed4b147, v15, -v49
	v_fmamk_f32 v76, v15, 0xbf27a4f4, v50
	v_fma_f32 v50, 0xbf27a4f4, v15, -v50
	;; [unrolled: 2-line block ×20, first 2 shown]
	v_add_f32_e32 v44, v13, v71
	v_add_f32_e32 v45, v13, v45
	;; [unrolled: 1-line block ×55, first 2 shown]
	ds_write2_b32 v22, v14, v16 offset0:34 offset1:51
	v_add_f32_e32 v14, v20, v56
	ds_write2_b32 v22, v17, v44 offset0:68 offset1:85
	ds_write2_b32 v22, v10, v32 offset0:102 offset1:119
	;; [unrolled: 1-line block ×3, first 2 shown]
	ds_write_b32 v22, v2 offset:680
	ds_write2_b32 v22, v14, v13 offset1:17
	s_waitcnt lgkmcnt(0)
	s_barrier
	buffer_gl0_inv
	ds_read2_b32 v[13:14], v21 offset0:85 offset1:187
	ds_read2_b32 v[15:16], v6 offset0:16 offset1:118
	;; [unrolled: 1-line block ×4, first 2 shown]
	ds_read_b32 v10, v33
	ds_read_b32 v32, v21 offset:3332
	s_and_saveexec_b32 s1, s0
	s_cbranch_execz .LBB0_16
; %bb.15:
	v_add_nc_u32_e32 v2, 0x200, v21
	v_add_nc_u32_e32 v4, 0x800, v21
	ds_read2_b32 v[2:3], v2 offset0:42 offset1:229
	ds_read2_b32 v[4:5], v4 offset0:32 offset1:219
	ds_read_b32 v54, v21 offset:3672
.LBB0_16:
	s_or_b32 exec_lo, exec_lo, s1
	v_add_f32_e32 v6, v35, v57
	v_add_f32_e32 v43, v57, v39
	v_sub_f32_e32 v44, v55, v56
	v_add_f32_e32 v45, v51, v40
	v_sub_f32_e32 v41, v41, v42
	v_add_f32_e32 v6, v6, v51
	v_mul_f32_e32 v42, 0x3f575c64, v43
	v_mul_f32_e32 v46, 0x3ed4b147, v43
	;; [unrolled: 1-line block ×4, first 2 shown]
	v_add_f32_e32 v6, v6, v37
	v_mul_f32_e32 v43, 0xbf75a155, v43
	v_mul_f32_e32 v49, 0x3ed4b147, v45
	v_fmamk_f32 v52, v44, 0x3f0a6770, v42
	v_fmac_f32_e32 v42, 0xbf0a6770, v44
	v_add_f32_e32 v6, v6, v29
	v_mul_f32_e32 v50, 0xbf27a4f4, v45
	v_fmamk_f32 v55, v44, 0x3f68dda4, v46
	v_fmac_f32_e32 v46, 0xbf68dda4, v44
	v_fmamk_f32 v56, v44, 0x3f7d64f0, v47
	v_add_f32_e32 v6, v6, v25
	v_fmac_f32_e32 v47, 0xbf7d64f0, v44
	v_fmamk_f32 v57, v44, 0x3f4178ce, v48
	v_fmac_f32_e32 v48, 0xbf4178ce, v44
	v_fmamk_f32 v58, v44, 0x3e903f40, v43
	v_add_f32_e32 v6, v6, v26
	v_fmac_f32_e32 v43, 0xbe903f40, v44
	v_fmamk_f32 v44, v41, 0x3f68dda4, v49
	v_fmac_f32_e32 v49, 0xbf68dda4, v41
	v_add_f32_e32 v42, v35, v42
	v_add_f32_e32 v6, v6, v30
	v_mul_f32_e32 v51, 0xbf75a155, v45
	v_fmamk_f32 v59, v41, 0x3f4178ce, v50
	v_add_f32_e32 v46, v35, v46
	v_fmac_f32_e32 v50, 0xbf4178ce, v41
	v_add_f32_e32 v6, v6, v38
	v_add_f32_e32 v37, v37, v38
	;; [unrolled: 1-line block ×3, first 2 shown]
	v_sub_f32_e32 v34, v34, v36
	v_add_f32_e32 v46, v50, v46
	v_add_f32_e32 v6, v6, v40
	;; [unrolled: 1-line block ×4, first 2 shown]
	v_mul_f32_e32 v36, 0xbe11bafb, v37
	v_add_f32_e32 v55, v35, v55
	v_add_f32_e32 v39, v6, v39
	;; [unrolled: 1-line block ×3, first 2 shown]
	v_mul_f32_e32 v49, 0xbe11bafb, v45
	v_mul_f32_e32 v45, 0x3f575c64, v45
	v_add_f32_e32 v56, v35, v56
	v_add_f32_e32 v47, v35, v47
	;; [unrolled: 1-line block ×3, first 2 shown]
	v_fmamk_f32 v38, v41, 0xbf7d64f0, v49
	v_fmac_f32_e32 v49, 0x3f7d64f0, v41
	v_fmamk_f32 v50, v41, 0xbf0a6770, v45
	v_add_f32_e32 v35, v35, v43
	v_add_f32_e32 v43, v44, v52
	v_fmamk_f32 v42, v41, 0xbe903f40, v51
	v_fmac_f32_e32 v51, 0x3e903f40, v41
	v_fmac_f32_e32 v45, 0x3f0a6770, v41
	v_add_f32_e32 v40, v49, v40
	v_add_f32_e32 v41, v50, v48
	v_fmamk_f32 v48, v34, 0x3f7d64f0, v36
	v_mul_f32_e32 v49, 0xbf75a155, v37
	v_add_f32_e32 v44, v59, v55
	v_add_f32_e32 v35, v45, v35
	v_fmac_f32_e32 v36, 0xbf7d64f0, v34
	v_mul_f32_e32 v45, 0x3ed4b147, v37
	v_add_f32_e32 v43, v48, v43
	v_fmamk_f32 v48, v34, 0xbe903f40, v49
	v_add_f32_e32 v42, v42, v56
	v_add_f32_e32 v47, v51, v47
	;; [unrolled: 1-line block ×3, first 2 shown]
	v_fmamk_f32 v36, v34, 0xbf68dda4, v45
	v_fmac_f32_e32 v45, 0x3f68dda4, v34
	v_add_f32_e32 v44, v48, v44
	v_mul_f32_e32 v48, 0x3f575c64, v37
	v_add_f32_e32 v29, v29, v30
	v_mul_f32_e32 v30, 0xbf27a4f4, v37
	v_add_f32_e32 v38, v38, v57
	v_add_f32_e32 v36, v36, v42
	;; [unrolled: 1-line block ×3, first 2 shown]
	v_fmamk_f32 v37, v34, 0x3f0a6770, v48
	v_fmac_f32_e32 v48, 0xbf0a6770, v34
	v_sub_f32_e32 v27, v27, v28
	v_mul_f32_e32 v28, 0xbf27a4f4, v29
	v_fmamk_f32 v45, v34, 0x3f4178ce, v30
	v_fmac_f32_e32 v49, 0x3e903f40, v34
	v_add_f32_e32 v37, v37, v38
	v_add_f32_e32 v38, v48, v40
	v_fmac_f32_e32 v30, 0xbf4178ce, v34
	v_fmamk_f32 v34, v27, 0x3f4178ce, v28
	v_add_f32_e32 v40, v45, v41
	v_mul_f32_e32 v41, 0xbe11bafb, v29
	v_fmac_f32_e32 v28, 0xbf4178ce, v27
	v_add_f32_e32 v30, v30, v35
	v_add_f32_e32 v34, v34, v43
	v_mul_f32_e32 v35, 0x3f575c64, v29
	v_fmamk_f32 v43, v27, 0xbf7d64f0, v41
	v_add_f32_e32 v6, v28, v6
	v_mul_f32_e32 v28, 0xbf75a155, v29
	v_mul_f32_e32 v29, 0x3ed4b147, v29
	v_add_f32_e32 v25, v25, v26
	v_add_f32_e32 v43, v43, v44
	v_fmac_f32_e32 v41, 0x3f7d64f0, v27
	v_fmamk_f32 v44, v27, 0x3e903f40, v28
	v_fmac_f32_e32 v28, 0xbe903f40, v27
	v_fmamk_f32 v45, v27, 0x3f0a6770, v35
	v_fmac_f32_e32 v35, 0xbf0a6770, v27
	v_sub_f32_e32 v23, v23, v24
	v_add_f32_e32 v26, v44, v37
	v_fmamk_f32 v37, v27, 0xbf68dda4, v29
	v_mul_f32_e32 v24, 0xbf75a155, v25
	v_fmac_f32_e32 v29, 0x3f68dda4, v27
	v_add_f32_e32 v27, v28, v38
	v_add_f32_e32 v46, v49, v46
	v_add_f32_e32 v28, v37, v40
	v_mul_f32_e32 v37, 0x3f575c64, v25
	v_fmamk_f32 v38, v23, 0x3e903f40, v24
	v_add_f32_e32 v29, v29, v30
	v_fmac_f32_e32 v24, 0xbe903f40, v23
	v_mul_f32_e32 v30, 0xbf27a4f4, v25
	v_fmamk_f32 v40, v23, 0xbf0a6770, v37
	v_add_f32_e32 v41, v41, v46
	v_add_f32_e32 v36, v45, v36
	;; [unrolled: 1-line block ×3, first 2 shown]
	v_fmac_f32_e32 v37, 0x3f0a6770, v23
	v_add_f32_e32 v6, v24, v6
	v_fmamk_f32 v24, v23, 0x3f4178ce, v30
	v_add_f32_e32 v38, v40, v43
	v_mul_f32_e32 v40, 0x3ed4b147, v25
	v_mul_f32_e32 v25, 0xbe11bafb, v25
	v_add_f32_e32 v37, v37, v41
	v_add_f32_e32 v24, v24, v36
	;; [unrolled: 1-line block ×3, first 2 shown]
	v_fmamk_f32 v36, v23, 0xbf68dda4, v40
	v_fmamk_f32 v41, v23, 0x3f7d64f0, v25
	v_fmac_f32_e32 v40, 0x3f68dda4, v23
	v_fmac_f32_e32 v25, 0xbf7d64f0, v23
	;; [unrolled: 1-line block ×3, first 2 shown]
	v_add_f32_e32 v26, v36, v26
	v_add_f32_e32 v28, v41, v28
	;; [unrolled: 1-line block ×5, first 2 shown]
	s_waitcnt lgkmcnt(0)
	s_barrier
	buffer_gl0_inv
	ds_write2_b32 v22, v39, v34 offset1:17
	ds_write2_b32 v22, v38, v24 offset0:34 offset1:51
	ds_write2_b32 v22, v26, v28 offset0:68 offset1:85
	ds_write2_b32 v22, v25, v27 offset0:102 offset1:119
	ds_write2_b32 v22, v23, v37 offset0:136 offset1:153
	ds_write_b32 v22, v6 offset:680
	v_add_nc_u32_e32 v25, 0x400, v21
	v_add_nc_u32_e32 v22, 0x800, v21
	s_waitcnt lgkmcnt(0)
	s_barrier
	buffer_gl0_inv
	ds_read2_b32 v[23:24], v21 offset0:85 offset1:187
	ds_read2_b32 v[27:28], v25 offset0:16 offset1:118
	;; [unrolled: 1-line block ×4, first 2 shown]
	ds_read_b32 v33, v33
	ds_read_b32 v34, v21 offset:3332
	s_and_saveexec_b32 s1, s0
	s_cbranch_execz .LBB0_18
; %bb.17:
	v_add_nc_u32_e32 v6, 0x200, v21
	ds_read2_b32 v[8:9], v22 offset0:32 offset1:219
	ds_read2_b32 v[6:7], v6 offset0:42 offset1:229
	ds_read_b32 v31, v21 offset:3672
.LBB0_18:
	s_or_b32 exec_lo, exec_lo, s1
	s_and_saveexec_b32 s1, vcc_lo
	s_cbranch_execz .LBB0_21
; %bb.19:
	v_add_nc_u32_e32 v66, 0x55, v53
	v_mov_b32_e32 v22, 0
	v_add_nc_u32_e32 v63, 0xbb, v53
	v_add_nc_u32_e32 v65, 0x231, v53
	;; [unrolled: 1-line block ×3, first 2 shown]
	v_lshlrev_b32_e32 v21, 2, v66
	v_mov_b32_e32 v12, v22
	v_add_nc_u32_e32 v67, 0x2ec, v53
	v_mad_u64_u32 v[51:52], null, s2, v63, 0
	v_lshlrev_b64 v[35:36], 3, v[21:22]
	v_lshlrev_b64 v[11:12], 3, v[11:12]
	v_mad_u64_u32 v[57:58], null, s2, v65, 0
	v_mul_hi_u32 v68, 0xaf3addc7, v66
	v_mad_u64_u32 v[55:56], null, s2, v64, 0
	v_add_co_u32 v39, vcc_lo, s8, v35
	v_add_co_ci_u32_e32 v40, vcc_lo, s9, v36, vcc_lo
	v_add_co_u32 v11, vcc_lo, s8, v11
	v_add_co_ci_u32_e32 v12, vcc_lo, s9, v12, vcc_lo
	s_clause 0x3
	global_load_dwordx4 v[35:38], v[39:40], off offset:1376
	global_load_dwordx4 v[39:42], v[39:40], off offset:1360
	global_load_dwordx4 v[43:46], v[11:12], off offset:1360
	global_load_dwordx4 v[47:50], v[11:12], off offset:1376
	v_mad_u64_u32 v[11:12], null, s2, v53, 0
	v_mad_u64_u32 v[59:60], null, s2, v67, 0
	v_mov_b32_e32 v21, v56
	v_add_co_u32 v0, vcc_lo, s12, v0
	v_add_co_ci_u32_e32 v1, vcc_lo, s13, v1, vcc_lo
	v_mad_u64_u32 v[61:62], null, s3, v53, v[12:13]
	v_mov_b32_e32 v12, v52
	v_mov_b32_e32 v52, v58
	v_lshrrev_b32_e32 v58, 7, v68
	v_mov_b32_e32 v56, v60
	v_mad_u64_u32 v[62:63], null, s3, v63, v[12:13]
	v_mad_u32_u24 v72, 0x2ec, v58, v66
	v_mad_u64_u32 v[63:64], null, s3, v64, v[21:22]
	v_mad_u64_u32 v[64:65], null, s3, v65, v[52:53]
	v_mad_u64_u32 v[65:66], null, s3, v67, v[56:57]
	v_mad_u64_u32 v[66:67], null, s2, v72, 0
	v_add_nc_u32_e32 v74, 0xbb, v72
	v_add_nc_u32_e32 v75, 0x176, v72
	;; [unrolled: 1-line block ×4, first 2 shown]
	v_mov_b32_e32 v12, v61
	v_mov_b32_e32 v52, v62
	v_mad_u64_u32 v[61:62], null, s2, v74, 0
	v_mov_b32_e32 v56, v63
	v_mov_b32_e32 v58, v64
	v_mad_u64_u32 v[63:64], null, s2, v75, 0
	v_mad_u64_u32 v[68:69], null, s2, v76, 0
	;; [unrolled: 1-line block ×3, first 2 shown]
	v_mov_b32_e32 v21, v67
	v_mov_b32_e32 v60, v65
	v_lshlrev_b64 v[11:12], 3, v[11:12]
	v_lshlrev_b64 v[51:52], 3, v[51:52]
	;; [unrolled: 1-line block ×3, first 2 shown]
	v_mad_u64_u32 v[72:73], null, s3, v72, v[21:22]
	v_mov_b32_e32 v21, v62
	v_mov_b32_e32 v62, v64
	;; [unrolled: 1-line block ×4, first 2 shown]
	v_add_co_u32 v11, vcc_lo, v0, v11
	v_mad_u64_u32 v[73:74], null, s3, v74, v[21:22]
	v_mad_u64_u32 v[74:75], null, s3, v75, v[62:63]
	;; [unrolled: 1-line block ×4, first 2 shown]
	v_mov_b32_e32 v67, v72
	v_mov_b32_e32 v62, v73
	;; [unrolled: 1-line block ×3, first 2 shown]
	v_add_co_ci_u32_e32 v12, vcc_lo, v1, v12, vcc_lo
	v_mov_b32_e32 v69, v75
	v_mov_b32_e32 v71, v76
	v_lshlrev_b64 v[65:66], 3, v[66:67]
	v_lshlrev_b64 v[57:58], 3, v[57:58]
	v_add_co_u32 v51, vcc_lo, v0, v51
	v_lshlrev_b64 v[67:68], 3, v[68:69]
	v_lshlrev_b64 v[69:70], 3, v[70:71]
	v_add_co_ci_u32_e32 v52, vcc_lo, v1, v52, vcc_lo
	v_lshlrev_b64 v[59:60], 3, v[59:60]
	v_add_co_u32 v55, vcc_lo, v0, v55
	v_add_co_ci_u32_e32 v56, vcc_lo, v1, v56, vcc_lo
	v_add_co_u32 v57, vcc_lo, v0, v57
	v_add_co_ci_u32_e32 v58, vcc_lo, v1, v58, vcc_lo
	v_add_co_u32 v59, vcc_lo, v0, v59
	v_lshlrev_b64 v[61:62], 3, v[61:62]
	v_add_co_ci_u32_e32 v60, vcc_lo, v1, v60, vcc_lo
	v_lshlrev_b64 v[63:64], 3, v[63:64]
	v_add_co_u32 v65, vcc_lo, v0, v65
	v_add_co_ci_u32_e32 v66, vcc_lo, v1, v66, vcc_lo
	v_add_co_u32 v61, vcc_lo, v0, v61
	v_add_co_ci_u32_e32 v62, vcc_lo, v1, v62, vcc_lo
	;; [unrolled: 2-line block ×5, first 2 shown]
	s_waitcnt vmcnt(3)
	v_mul_f32_e32 v72, v19, v36
	s_waitcnt vmcnt(2)
	v_mul_f32_e32 v21, v17, v42
	v_mul_f32_e32 v71, v15, v40
	;; [unrolled: 1-line block ×3, first 2 shown]
	s_waitcnt lgkmcnt(3)
	v_mul_f32_e32 v42, v25, v42
	s_waitcnt lgkmcnt(2)
	v_mul_f32_e32 v36, v29, v36
	v_mul_f32_e32 v40, v27, v40
	s_waitcnt lgkmcnt(0)
	v_mul_f32_e32 v38, v34, v38
	s_waitcnt vmcnt(1)
	v_mul_f32_e32 v74, v14, v44
	v_mul_f32_e32 v75, v16, v46
	s_waitcnt vmcnt(0)
	v_mul_f32_e32 v77, v18, v48
	v_mul_f32_e32 v46, v28, v46
	;; [unrolled: 1-line block ×6, first 2 shown]
	v_fma_f32 v21, v25, v41, -v21
	v_fma_f32 v25, v27, v39, -v71
	;; [unrolled: 1-line block ×4, first 2 shown]
	v_fmac_f32_e32 v42, v17, v41
	v_fmac_f32_e32 v36, v19, v35
	;; [unrolled: 1-line block ×4, first 2 shown]
	v_fma_f32 v15, v24, v43, -v74
	v_fma_f32 v24, v28, v45, -v75
	;; [unrolled: 1-line block ×3, first 2 shown]
	v_fmac_f32_e32 v46, v16, v45
	v_fmac_f32_e32 v48, v18, v47
	v_fma_f32 v35, v30, v49, -v76
	v_fmac_f32_e32 v44, v14, v43
	v_fmac_f32_e32 v50, v20, v49
	v_sub_f32_e32 v14, v21, v25
	v_sub_f32_e32 v16, v27, v34
	v_add_f32_e32 v17, v25, v34
	v_sub_f32_e32 v39, v40, v38
	v_sub_f32_e32 v18, v42, v40
	;; [unrolled: 1-line block ×4, first 2 shown]
	v_add_f32_e32 v20, v40, v38
	v_sub_f32_e32 v26, v25, v21
	v_sub_f32_e32 v28, v34, v27
	;; [unrolled: 1-line block ×3, first 2 shown]
	v_add_f32_e32 v47, v42, v36
	v_add_f32_e32 v25, v23, v25
	;; [unrolled: 1-line block ×8, first 2 shown]
	v_sub_f32_e32 v73, v44, v50
	v_sub_f32_e32 v75, v44, v46
	;; [unrolled: 1-line block ×3, first 2 shown]
	v_add_f32_e32 v86, v33, v15
	v_add_f32_e32 v44, v10, v44
	v_sub_f32_e32 v78, v15, v35
	v_add_f32_e32 v87, v14, v16
	v_add_f32_e32 v88, v18, v19
	v_fma_f32 v14, -0.5, v20, v13
	v_add_f32_e32 v89, v26, v28
	v_fma_f32 v16, -0.5, v47, v13
	v_add_f32_e32 v13, v21, v25
	v_add_f32_e32 v28, v42, v40
	v_fma_f32 v19, -0.5, v72, v33
	v_fma_f32 v18, -0.5, v77, v10
	v_sub_f32_e32 v43, v21, v27
	v_sub_f32_e32 v45, v38, v36
	;; [unrolled: 1-line block ×4, first 2 shown]
	v_fma_f32 v21, -0.5, v82, v33
	v_fma_f32 v20, -0.5, v85, v10
	v_sub_f32_e32 v37, v42, v36
	v_sub_f32_e32 v49, v15, v24
	;; [unrolled: 1-line block ×3, first 2 shown]
	v_fma_f32 v15, -0.5, v17, v23
	v_fma_f32 v17, -0.5, v29, v23
	v_add_f32_e32 v10, v86, v24
	v_add_f32_e32 v33, v44, v46
	v_sub_f32_e32 v71, v35, v32
	v_sub_f32_e32 v76, v50, v48
	v_add_f32_e32 v13, v27, v13
	v_add_f32_e32 v36, v28, v36
	v_fmamk_f32 v28, v73, 0xbf737871, v19
	v_fmamk_f32 v27, v78, 0x3f737871, v18
	v_fmac_f32_e32 v19, 0x3f737871, v73
	v_fmac_f32_e32 v18, 0xbf737871, v78
	v_sub_f32_e32 v81, v32, v35
	v_sub_f32_e32 v84, v48, v50
	v_add_f32_e32 v45, v30, v45
	v_fmamk_f32 v30, v74, 0x3f737871, v21
	v_fmamk_f32 v29, v79, 0xbf737871, v20
	v_fmac_f32_e32 v21, 0xbf737871, v74
	v_fmac_f32_e32 v20, 0x3f737871, v79
	v_fmamk_f32 v24, v37, 0x3f737871, v15
	v_fmamk_f32 v23, v43, 0xbf737871, v14
	v_fmac_f32_e32 v15, 0xbf737871, v37
	v_fmac_f32_e32 v14, 0x3f737871, v43
	;; [unrolled: 4-line block ×3, first 2 shown]
	v_add_f32_e32 v10, v10, v32
	v_add_f32_e32 v44, v33, v48
	;; [unrolled: 1-line block ×4, first 2 shown]
	v_fmac_f32_e32 v19, 0x3f167918, v74
	v_fmac_f32_e32 v18, 0xbf167918, v79
	v_add_f32_e32 v47, v80, v81
	v_add_f32_e32 v49, v83, v84
	v_fmac_f32_e32 v21, 0x3f167918, v73
	v_fmac_f32_e32 v20, 0xbf167918, v78
	;; [unrolled: 1-line block ×12, first 2 shown]
	v_add_f32_e32 v33, v13, v34
	v_fmac_f32_e32 v17, 0xbf167918, v37
	v_fmac_f32_e32 v16, 0x3f167918, v43
	v_add_f32_e32 v35, v35, v10
	v_add_f32_e32 v34, v50, v44
	v_fmac_f32_e32 v19, 0x3e9e377a, v40
	v_fmac_f32_e32 v18, 0x3e9e377a, v42
	;; [unrolled: 1-line block ×8, first 2 shown]
	v_add_f32_e32 v32, v36, v38
	v_fmac_f32_e32 v24, 0x3e9e377a, v87
	v_fmac_f32_e32 v23, 0x3e9e377a, v88
	;; [unrolled: 1-line block ×8, first 2 shown]
	global_store_dwordx2 v[11:12], v[34:35], off
	global_store_dwordx2 v[51:52], v[18:19], off
	;; [unrolled: 1-line block ×10, first 2 shown]
	s_and_b32 exec_lo, exec_lo, s0
	s_cbranch_execz .LBB0_21
; %bb.20:
	v_add_nc_u32_e32 v28, 0xaa, v53
	v_subrev_nc_u32_e32 v10, 17, v53
	v_add_nc_u32_e32 v30, 0x165, v53
	v_or_b32_e32 v32, 0x220, v53
	v_add_nc_u32_e32 v34, 0x2db, v53
	v_mad_u64_u32 v[18:19], null, s2, v28, 0
	v_cndmask_b32_e64 v10, v10, v28, s0
	v_add_nc_u32_e32 v35, 0x396, v53
	v_mad_u64_u32 v[24:25], null, s2, v34, 0
	v_lshlrev_b32_e32 v21, 2, v10
	v_mad_u64_u32 v[26:27], null, s2, v35, 0
	v_lshlrev_b64 v[10:11], 3, v[21:22]
	v_mad_u64_u32 v[20:21], null, s2, v30, 0
	v_mad_u64_u32 v[22:23], null, s2, v32, 0
	v_add_co_u32 v14, vcc_lo, s8, v10
	v_add_co_ci_u32_e32 v15, vcc_lo, s9, v11, vcc_lo
	v_mad_u64_u32 v[28:29], null, s3, v28, v[19:20]
	s_clause 0x1
	global_load_dwordx4 v[10:13], v[14:15], off offset:1360
	global_load_dwordx4 v[14:17], v[14:15], off offset:1376
	v_mad_u64_u32 v[29:30], null, s3, v30, v[21:22]
	v_mad_u64_u32 v[32:33], null, s3, v32, v[23:24]
	v_mov_b32_e32 v19, v28
	v_mad_u64_u32 v[33:34], null, s3, v34, v[25:26]
	v_mad_u64_u32 v[34:35], null, s3, v35, v[27:28]
	v_mov_b32_e32 v21, v29
	v_lshlrev_b64 v[18:19], 3, v[18:19]
	v_mov_b32_e32 v23, v32
	v_mov_b32_e32 v25, v33
	v_lshlrev_b64 v[20:21], 3, v[20:21]
	v_mov_b32_e32 v27, v34
	v_lshlrev_b64 v[22:23], 3, v[22:23]
	v_add_co_u32 v18, vcc_lo, v0, v18
	v_add_co_ci_u32_e32 v19, vcc_lo, v1, v19, vcc_lo
	v_lshlrev_b64 v[24:25], 3, v[24:25]
	v_add_co_u32 v20, vcc_lo, v0, v20
	v_add_co_ci_u32_e32 v21, vcc_lo, v1, v21, vcc_lo
	;; [unrolled: 3-line block ×3, first 2 shown]
	v_add_co_u32 v24, vcc_lo, v0, v24
	v_add_co_ci_u32_e32 v25, vcc_lo, v1, v25, vcc_lo
	v_add_co_u32 v0, vcc_lo, v0, v26
	v_add_co_ci_u32_e32 v1, vcc_lo, v1, v27, vcc_lo
	s_waitcnt vmcnt(1)
	v_mul_f32_e32 v26, v7, v11
	v_mul_f32_e32 v11, v3, v11
	;; [unrolled: 1-line block ×4, first 2 shown]
	s_waitcnt vmcnt(0)
	v_mul_f32_e32 v28, v9, v15
	v_mul_f32_e32 v15, v5, v15
	;; [unrolled: 1-line block ×4, first 2 shown]
	v_fmac_f32_e32 v26, v3, v10
	v_fma_f32 v3, v7, v10, -v11
	v_fmac_f32_e32 v27, v4, v12
	v_fma_f32 v7, v8, v12, -v13
	v_fmac_f32_e32 v28, v5, v14
	v_fma_f32 v12, v31, v16, -v17
	v_fma_f32 v8, v9, v14, -v15
	v_fmac_f32_e32 v29, v54, v16
	v_add_f32_e32 v4, v2, v26
	v_add_f32_e32 v5, v27, v28
	v_sub_f32_e32 v9, v26, v27
	v_add_f32_e32 v17, v6, v3
	v_sub_f32_e32 v10, v29, v28
	v_add_f32_e32 v30, v7, v8
	v_add_f32_e32 v34, v3, v12
	;; [unrolled: 1-line block ×3, first 2 shown]
	v_sub_f32_e32 v15, v27, v26
	v_sub_f32_e32 v31, v27, v28
	v_add_f32_e32 v27, v4, v27
	v_fma_f32 v4, -0.5, v5, v2
	v_add_f32_e32 v36, v9, v10
	v_add_f32_e32 v10, v17, v7
	v_fma_f32 v5, -0.5, v30, v6
	v_fmac_f32_e32 v6, -0.5, v34
	v_sub_f32_e32 v13, v3, v12
	v_sub_f32_e32 v26, v26, v29
	;; [unrolled: 1-line block ×3, first 2 shown]
	v_fmac_f32_e32 v2, -0.5, v11
	v_sub_f32_e32 v32, v3, v7
	v_sub_f32_e32 v3, v7, v3
	v_sub_f32_e32 v35, v8, v12
	v_add_f32_e32 v17, v10, v8
	v_fmamk_f32 v10, v31, 0xbf737871, v6
	v_fmac_f32_e32 v6, 0x3f737871, v31
	v_sub_f32_e32 v16, v28, v29
	v_sub_f32_e32 v33, v12, v8
	v_fmamk_f32 v7, v13, 0xbf737871, v4
	v_fmamk_f32 v8, v26, 0x3f737871, v5
	;; [unrolled: 1-line block ×3, first 2 shown]
	v_add_f32_e32 v3, v3, v35
	v_fmac_f32_e32 v2, 0xbf737871, v14
	v_fmac_f32_e32 v6, 0xbf167918, v26
	;; [unrolled: 1-line block ×4, first 2 shown]
	v_add_f32_e32 v11, v27, v28
	v_add_f32_e32 v15, v15, v16
	;; [unrolled: 1-line block ×3, first 2 shown]
	v_fmac_f32_e32 v7, 0xbf167918, v14
	v_fmac_f32_e32 v8, 0x3f167918, v31
	v_fmac_f32_e32 v9, 0xbf167918, v13
	v_fmac_f32_e32 v10, 0x3f167918, v26
	v_fmac_f32_e32 v2, 0x3f167918, v13
	v_fmac_f32_e32 v6, 0x3e9e377a, v3
	v_fmac_f32_e32 v4, 0x3f167918, v14
	v_fmac_f32_e32 v5, 0xbf167918, v31
	v_add_f32_e32 v11, v11, v29
	v_add_f32_e32 v12, v17, v12
	v_fmac_f32_e32 v7, 0x3e9e377a, v36
	v_fmac_f32_e32 v8, 0x3e9e377a, v16
	v_fmac_f32_e32 v9, 0x3e9e377a, v15
	v_fmac_f32_e32 v10, 0x3e9e377a, v3
	v_fmac_f32_e32 v2, 0x3e9e377a, v15
	v_mov_b32_e32 v3, v6
	v_fmac_f32_e32 v4, 0x3e9e377a, v36
	v_fmac_f32_e32 v5, 0x3e9e377a, v16
	global_store_dwordx2 v[18:19], v[11:12], off
	global_store_dwordx2 v[20:21], v[7:8], off
	;; [unrolled: 1-line block ×5, first 2 shown]
.LBB0_21:
	s_endpgm
	.section	.rodata,"a",@progbits
	.p2align	6, 0x0
	.amdhsa_kernel fft_rtc_back_len935_factors_17_11_5_wgs_255_tpt_85_halfLds_sp_ip_CI_sbrr_dirReg
		.amdhsa_group_segment_fixed_size 0
		.amdhsa_private_segment_fixed_size 0
		.amdhsa_kernarg_size 88
		.amdhsa_user_sgpr_count 6
		.amdhsa_user_sgpr_private_segment_buffer 1
		.amdhsa_user_sgpr_dispatch_ptr 0
		.amdhsa_user_sgpr_queue_ptr 0
		.amdhsa_user_sgpr_kernarg_segment_ptr 1
		.amdhsa_user_sgpr_dispatch_id 0
		.amdhsa_user_sgpr_flat_scratch_init 0
		.amdhsa_user_sgpr_private_segment_size 0
		.amdhsa_wavefront_size32 1
		.amdhsa_uses_dynamic_stack 0
		.amdhsa_system_sgpr_private_segment_wavefront_offset 0
		.amdhsa_system_sgpr_workgroup_id_x 1
		.amdhsa_system_sgpr_workgroup_id_y 0
		.amdhsa_system_sgpr_workgroup_id_z 0
		.amdhsa_system_sgpr_workgroup_info 0
		.amdhsa_system_vgpr_workitem_id 0
		.amdhsa_next_free_vgpr 124
		.amdhsa_next_free_sgpr 23
		.amdhsa_reserve_vcc 1
		.amdhsa_reserve_flat_scratch 0
		.amdhsa_float_round_mode_32 0
		.amdhsa_float_round_mode_16_64 0
		.amdhsa_float_denorm_mode_32 3
		.amdhsa_float_denorm_mode_16_64 3
		.amdhsa_dx10_clamp 1
		.amdhsa_ieee_mode 1
		.amdhsa_fp16_overflow 0
		.amdhsa_workgroup_processor_mode 1
		.amdhsa_memory_ordered 1
		.amdhsa_forward_progress 0
		.amdhsa_shared_vgpr_count 0
		.amdhsa_exception_fp_ieee_invalid_op 0
		.amdhsa_exception_fp_denorm_src 0
		.amdhsa_exception_fp_ieee_div_zero 0
		.amdhsa_exception_fp_ieee_overflow 0
		.amdhsa_exception_fp_ieee_underflow 0
		.amdhsa_exception_fp_ieee_inexact 0
		.amdhsa_exception_int_div_zero 0
	.end_amdhsa_kernel
	.text
.Lfunc_end0:
	.size	fft_rtc_back_len935_factors_17_11_5_wgs_255_tpt_85_halfLds_sp_ip_CI_sbrr_dirReg, .Lfunc_end0-fft_rtc_back_len935_factors_17_11_5_wgs_255_tpt_85_halfLds_sp_ip_CI_sbrr_dirReg
                                        ; -- End function
	.section	.AMDGPU.csdata,"",@progbits
; Kernel info:
; codeLenInByte = 12528
; NumSgprs: 25
; NumVgprs: 124
; ScratchSize: 0
; MemoryBound: 0
; FloatMode: 240
; IeeeMode: 1
; LDSByteSize: 0 bytes/workgroup (compile time only)
; SGPRBlocks: 3
; VGPRBlocks: 15
; NumSGPRsForWavesPerEU: 25
; NumVGPRsForWavesPerEU: 124
; Occupancy: 8
; WaveLimiterHint : 1
; COMPUTE_PGM_RSRC2:SCRATCH_EN: 0
; COMPUTE_PGM_RSRC2:USER_SGPR: 6
; COMPUTE_PGM_RSRC2:TRAP_HANDLER: 0
; COMPUTE_PGM_RSRC2:TGID_X_EN: 1
; COMPUTE_PGM_RSRC2:TGID_Y_EN: 0
; COMPUTE_PGM_RSRC2:TGID_Z_EN: 0
; COMPUTE_PGM_RSRC2:TIDIG_COMP_CNT: 0
	.text
	.p2alignl 6, 3214868480
	.fill 48, 4, 3214868480
	.type	__hip_cuid_a13aeaa54852508d,@object ; @__hip_cuid_a13aeaa54852508d
	.section	.bss,"aw",@nobits
	.globl	__hip_cuid_a13aeaa54852508d
__hip_cuid_a13aeaa54852508d:
	.byte	0                               ; 0x0
	.size	__hip_cuid_a13aeaa54852508d, 1

	.ident	"AMD clang version 19.0.0git (https://github.com/RadeonOpenCompute/llvm-project roc-6.4.0 25133 c7fe45cf4b819c5991fe208aaa96edf142730f1d)"
	.section	".note.GNU-stack","",@progbits
	.addrsig
	.addrsig_sym __hip_cuid_a13aeaa54852508d
	.amdgpu_metadata
---
amdhsa.kernels:
  - .args:
      - .actual_access:  read_only
        .address_space:  global
        .offset:         0
        .size:           8
        .value_kind:     global_buffer
      - .offset:         8
        .size:           8
        .value_kind:     by_value
      - .actual_access:  read_only
        .address_space:  global
        .offset:         16
        .size:           8
        .value_kind:     global_buffer
      - .actual_access:  read_only
        .address_space:  global
        .offset:         24
        .size:           8
        .value_kind:     global_buffer
      - .offset:         32
        .size:           8
        .value_kind:     by_value
      - .actual_access:  read_only
        .address_space:  global
        .offset:         40
        .size:           8
        .value_kind:     global_buffer
      - .actual_access:  read_only
        .address_space:  global
        .offset:         48
        .size:           8
        .value_kind:     global_buffer
      - .offset:         56
        .size:           4
        .value_kind:     by_value
      - .actual_access:  read_only
        .address_space:  global
        .offset:         64
        .size:           8
        .value_kind:     global_buffer
      - .actual_access:  read_only
        .address_space:  global
        .offset:         72
        .size:           8
        .value_kind:     global_buffer
      - .address_space:  global
        .offset:         80
        .size:           8
        .value_kind:     global_buffer
    .group_segment_fixed_size: 0
    .kernarg_segment_align: 8
    .kernarg_segment_size: 88
    .language:       OpenCL C
    .language_version:
      - 2
      - 0
    .max_flat_workgroup_size: 255
    .name:           fft_rtc_back_len935_factors_17_11_5_wgs_255_tpt_85_halfLds_sp_ip_CI_sbrr_dirReg
    .private_segment_fixed_size: 0
    .sgpr_count:     25
    .sgpr_spill_count: 0
    .symbol:         fft_rtc_back_len935_factors_17_11_5_wgs_255_tpt_85_halfLds_sp_ip_CI_sbrr_dirReg.kd
    .uniform_work_group_size: 1
    .uses_dynamic_stack: false
    .vgpr_count:     124
    .vgpr_spill_count: 0
    .wavefront_size: 32
    .workgroup_processor_mode: 1
amdhsa.target:   amdgcn-amd-amdhsa--gfx1030
amdhsa.version:
  - 1
  - 2
...

	.end_amdgpu_metadata
